;; amdgpu-corpus repo=ROCm/rocFFT kind=compiled arch=gfx950 opt=O3
	.text
	.amdgcn_target "amdgcn-amd-amdhsa--gfx950"
	.amdhsa_code_object_version 6
	.protected	fft_rtc_back_len425_factors_17_5_5_wgs_51_tpt_17_halfLds_sp_op_CI_CI_sbrr_dirReg ; -- Begin function fft_rtc_back_len425_factors_17_5_5_wgs_51_tpt_17_halfLds_sp_op_CI_CI_sbrr_dirReg
	.globl	fft_rtc_back_len425_factors_17_5_5_wgs_51_tpt_17_halfLds_sp_op_CI_CI_sbrr_dirReg
	.p2align	8
	.type	fft_rtc_back_len425_factors_17_5_5_wgs_51_tpt_17_halfLds_sp_op_CI_CI_sbrr_dirReg,@function
fft_rtc_back_len425_factors_17_5_5_wgs_51_tpt_17_halfLds_sp_op_CI_CI_sbrr_dirReg: ; @fft_rtc_back_len425_factors_17_5_5_wgs_51_tpt_17_halfLds_sp_op_CI_CI_sbrr_dirReg
; %bb.0:
	s_load_dwordx4 s[12:15], s[0:1], 0x18
	s_load_dwordx4 s[8:11], s[0:1], 0x0
	;; [unrolled: 1-line block ×3, first 2 shown]
                                        ; implicit-def: $vgpr206 : SGPR spill to VGPR lane
	v_mul_u32_u24_e32 v1, 0xf10, v0
	v_lshrrev_b32_e32 v2, 16, v1
	v_mad_u64_u32 v[68:69], s[2:3], s2, 3, v[2:3]
	s_waitcnt lgkmcnt(0)
	v_writelane_b32 v206, s4, 0
	v_mov_b32_e32 v6, 0
	v_mov_b32_e32 v69, v6
	v_writelane_b32 v206, s5, 1
	v_writelane_b32 v206, s6, 2
	;; [unrolled: 1-line block ×3, first 2 shown]
	s_load_dwordx2 s[4:5], s[12:13], 0x0
	s_load_dwordx2 s[6:7], s[14:15], 0x0
	v_mov_b64_e32 v[76:77], 0
	v_mov_b64_e32 v[2:3], v[76:77]
	;; [unrolled: 1-line block ×3, first 2 shown]
	s_waitcnt lgkmcnt(0)
	v_writelane_b32 v206, s6, 4
	s_nop 1
	v_writelane_b32 v206, s7, 5
	v_writelane_b32 v206, s8, 6
	s_nop 1
	v_writelane_b32 v206, s9, 7
	v_cmp_lt_u64_e64 s[2:3], s[10:11], 2
	v_writelane_b32 v206, s10, 8
	s_and_b64 vcc, exec, s[2:3]
	v_writelane_b32 v206, s11, 9
	s_cbranch_vccnz .LBB0_8
; %bb.1:
	s_load_dwordx2 s[2:3], s[0:1], 0x10
	s_add_u32 s6, s14, 8
	s_addc_u32 s7, s15, 0
	s_add_u32 s8, s12, 8
	s_addc_u32 s9, s13, 0
	s_waitcnt lgkmcnt(0)
	s_add_u32 s10, s2, 8
	v_mov_b64_e32 v[76:77], 0
	s_addc_u32 s11, s3, 0
	s_mov_b64 s[18:19], 1
	v_mov_b64_e32 v[2:3], v[76:77]
	v_mov_b64_e32 v[8:9], v[68:69]
.LBB0_2:                                ; =>This Inner Loop Header: Depth=1
	s_load_dwordx2 s[20:21], s[10:11], 0x0
                                        ; implicit-def: $vgpr4_vgpr5
	s_waitcnt lgkmcnt(0)
	v_or_b32_e32 v7, s21, v9
	v_cmp_ne_u64_e32 vcc, 0, v[6:7]
	s_and_saveexec_b64 s[2:3], vcc
	s_xor_b64 s[22:23], exec, s[2:3]
	s_cbranch_execz .LBB0_4
; %bb.3:                                ;   in Loop: Header=BB0_2 Depth=1
	v_cvt_f32_u32_e32 v1, s20
	v_cvt_f32_u32_e32 v4, s21
	s_sub_u32 s2, 0, s20
	s_subb_u32 s3, 0, s21
	v_fmac_f32_e32 v1, 0x4f800000, v4
	v_rcp_f32_e32 v1, v1
	s_nop 0
	v_mul_f32_e32 v1, 0x5f7ffffc, v1
	v_mul_f32_e32 v4, 0x2f800000, v1
	v_trunc_f32_e32 v4, v4
	v_fmac_f32_e32 v1, 0xcf800000, v4
	v_cvt_u32_f32_e32 v7, v4
	v_cvt_u32_f32_e32 v1, v1
	v_mul_lo_u32 v4, s2, v7
	v_mul_hi_u32 v10, s2, v1
	v_mul_lo_u32 v5, s3, v1
	v_add_u32_e32 v10, v10, v4
	v_mul_lo_u32 v12, s2, v1
	v_add_u32_e32 v13, v10, v5
	v_mul_hi_u32 v4, v1, v12
	v_mul_hi_u32 v11, v1, v13
	v_mul_lo_u32 v10, v1, v13
	v_mov_b32_e32 v5, v6
	v_lshl_add_u64 v[4:5], v[4:5], 0, v[10:11]
	v_mul_hi_u32 v11, v7, v12
	v_mul_lo_u32 v12, v7, v12
	v_add_co_u32_e32 v4, vcc, v4, v12
	v_mul_hi_u32 v10, v7, v13
	s_nop 0
	v_addc_co_u32_e32 v4, vcc, v5, v11, vcc
	v_mov_b32_e32 v5, v6
	s_nop 0
	v_addc_co_u32_e32 v11, vcc, 0, v10, vcc
	v_mul_lo_u32 v10, v7, v13
	v_lshl_add_u64 v[4:5], v[4:5], 0, v[10:11]
	v_add_co_u32_e32 v1, vcc, v1, v4
	v_mul_lo_u32 v10, s2, v1
	s_nop 0
	v_addc_co_u32_e32 v7, vcc, v7, v5, vcc
	v_mul_lo_u32 v4, s2, v7
	v_mul_hi_u32 v5, s2, v1
	v_add_u32_e32 v4, v5, v4
	v_mul_lo_u32 v5, s3, v1
	v_add_u32_e32 v12, v4, v5
	v_mul_hi_u32 v14, v7, v10
	v_mul_lo_u32 v15, v7, v10
	v_mul_hi_u32 v5, v1, v12
	v_mul_lo_u32 v4, v1, v12
	v_mul_hi_u32 v10, v1, v10
	v_mov_b32_e32 v11, v6
	v_lshl_add_u64 v[4:5], v[10:11], 0, v[4:5]
	v_add_co_u32_e32 v4, vcc, v4, v15
	v_mul_hi_u32 v13, v7, v12
	s_nop 0
	v_addc_co_u32_e32 v4, vcc, v5, v14, vcc
	v_mul_lo_u32 v10, v7, v12
	s_nop 0
	v_addc_co_u32_e32 v11, vcc, 0, v13, vcc
	v_mov_b32_e32 v5, v6
	v_lshl_add_u64 v[4:5], v[4:5], 0, v[10:11]
	v_add_co_u32_e32 v1, vcc, v1, v4
	v_mul_hi_u32 v10, v8, v1
	s_nop 0
	v_addc_co_u32_e32 v7, vcc, v7, v5, vcc
	v_mad_u64_u32 v[4:5], s[2:3], v8, v7, 0
	v_mov_b32_e32 v11, v6
	v_lshl_add_u64 v[4:5], v[10:11], 0, v[4:5]
	v_mad_u64_u32 v[12:13], s[2:3], v9, v1, 0
	v_add_co_u32_e32 v1, vcc, v4, v12
	v_mad_u64_u32 v[10:11], s[2:3], v9, v7, 0
	s_nop 0
	v_addc_co_u32_e32 v4, vcc, v5, v13, vcc
	v_mov_b32_e32 v5, v6
	s_nop 0
	v_addc_co_u32_e32 v11, vcc, 0, v11, vcc
	v_lshl_add_u64 v[4:5], v[4:5], 0, v[10:11]
	v_mul_lo_u32 v1, s21, v4
	v_mul_lo_u32 v7, s20, v5
	v_mad_u64_u32 v[10:11], s[2:3], s20, v4, 0
	v_add3_u32 v1, v11, v7, v1
	v_sub_u32_e32 v7, v9, v1
	v_mov_b32_e32 v11, s21
	v_sub_co_u32_e32 v14, vcc, v8, v10
	v_lshl_add_u64 v[12:13], v[4:5], 0, 1
	s_nop 0
	v_subb_co_u32_e64 v7, s[2:3], v7, v11, vcc
	v_subrev_co_u32_e64 v10, s[2:3], s20, v14
	v_subb_co_u32_e32 v1, vcc, v9, v1, vcc
	s_nop 0
	v_subbrev_co_u32_e64 v7, s[2:3], 0, v7, s[2:3]
	v_cmp_le_u32_e64 s[2:3], s21, v7
	v_cmp_le_u32_e32 vcc, s21, v1
	s_nop 0
	v_cndmask_b32_e64 v11, 0, -1, s[2:3]
	v_cmp_le_u32_e64 s[2:3], s20, v10
	s_nop 1
	v_cndmask_b32_e64 v10, 0, -1, s[2:3]
	v_cmp_eq_u32_e64 s[2:3], s21, v7
	s_nop 1
	v_cndmask_b32_e64 v7, v11, v10, s[2:3]
	v_lshl_add_u64 v[10:11], v[4:5], 0, 2
	v_cmp_ne_u32_e64 s[2:3], 0, v7
	s_nop 1
	v_cndmask_b32_e64 v7, v13, v11, s[2:3]
	v_cndmask_b32_e64 v11, 0, -1, vcc
	v_cmp_le_u32_e32 vcc, s20, v14
	s_nop 1
	v_cndmask_b32_e64 v13, 0, -1, vcc
	v_cmp_eq_u32_e32 vcc, s21, v1
	s_nop 1
	v_cndmask_b32_e32 v1, v11, v13, vcc
	v_cmp_ne_u32_e32 vcc, 0, v1
	v_cndmask_b32_e64 v1, v12, v10, s[2:3]
	s_nop 0
	v_cndmask_b32_e32 v5, v5, v7, vcc
	v_cndmask_b32_e32 v4, v4, v1, vcc
.LBB0_4:                                ;   in Loop: Header=BB0_2 Depth=1
	s_andn2_saveexec_b64 s[2:3], s[22:23]
	s_cbranch_execz .LBB0_6
; %bb.5:                                ;   in Loop: Header=BB0_2 Depth=1
	v_cvt_f32_u32_e32 v1, s20
	s_sub_i32 s16, 0, s20
	v_rcp_iflag_f32_e32 v1, v1
	s_nop 0
	v_mul_f32_e32 v1, 0x4f7ffffe, v1
	v_cvt_u32_f32_e32 v1, v1
	v_mul_lo_u32 v4, s16, v1
	v_mul_hi_u32 v4, v1, v4
	v_add_u32_e32 v1, v1, v4
	v_mul_hi_u32 v1, v8, v1
	v_mul_lo_u32 v4, v1, s20
	v_sub_u32_e32 v4, v8, v4
	v_add_u32_e32 v5, 1, v1
	v_subrev_u32_e32 v7, s20, v4
	v_cmp_le_u32_e32 vcc, s20, v4
	s_nop 1
	v_cndmask_b32_e32 v4, v4, v7, vcc
	v_cndmask_b32_e32 v1, v1, v5, vcc
	v_add_u32_e32 v5, 1, v1
	v_cmp_le_u32_e32 vcc, s20, v4
	s_nop 1
	v_cndmask_b32_e32 v4, v1, v5, vcc
	v_mov_b32_e32 v5, v6
.LBB0_6:                                ;   in Loop: Header=BB0_2 Depth=1
	s_or_b64 exec, exec, s[2:3]
	v_mad_u64_u32 v[10:11], s[2:3], v4, s20, 0
	s_load_dwordx2 s[2:3], s[8:9], 0x0
	v_mul_lo_u32 v1, v5, s20
	v_mul_lo_u32 v7, v4, s21
	s_load_dwordx2 s[20:21], s[6:7], 0x0
	v_add3_u32 v1, v11, v7, v1
	v_sub_co_u32_e32 v7, vcc, v8, v10
	s_add_u32 s18, s18, 1
	s_nop 0
	v_subb_co_u32_e32 v1, vcc, v9, v1, vcc
	s_waitcnt lgkmcnt(0)
	v_mul_lo_u32 v8, s2, v1
	v_mul_lo_u32 v9, s3, v7
	v_mad_u64_u32 v[76:77], s[2:3], s2, v7, v[76:77]
	v_add3_u32 v77, v9, v77, v8
	v_mul_lo_u32 v1, s20, v1
	v_mul_lo_u32 v8, s21, v7
	v_mad_u64_u32 v[2:3], s[2:3], s20, v7, v[2:3]
	s_load_dwordx4 s[20:23], s[0:1], 0x0
	s_addc_u32 s19, s19, 0
	s_add_u32 s6, s6, 8
	s_addc_u32 s7, s7, 0
	s_add_u32 s8, s8, 8
	v_add3_u32 v3, v8, v3, v1
	s_addc_u32 s9, s9, 0
	s_waitcnt lgkmcnt(0)
	v_mov_b64_e32 v[8:9], s[22:23]
	s_add_u32 s10, s10, 8
	v_cmp_ge_u64_e32 vcc, s[18:19], v[8:9]
	s_addc_u32 s11, s11, 0
	s_cbranch_vccnz .LBB0_8
; %bb.7:                                ;   in Loop: Header=BB0_2 Depth=1
	v_mov_b64_e32 v[8:9], v[4:5]
	s_branch .LBB0_2
.LBB0_8:
	s_load_dwordx2 s[0:1], s[0:1], 0x28
	v_readlane_b32 s8, v206, 6
	v_readlane_b32 s10, v206, 8
	;; [unrolled: 1-line block ×3, first 2 shown]
	s_lshl_b64 s[6:7], s[10:11], 3
	v_readlane_b32 s9, v206, 7
	s_add_u32 s8, s14, s6
	s_waitcnt lgkmcnt(0)
	v_cmp_gt_u64_e64 s[2:3], s[0:1], v[4:5]
	s_addc_u32 s9, s15, s7
	v_cmp_le_u64_e64 s[0:1], s[0:1], v[4:5]
	v_writelane_b32 v206, s2, 10
                                        ; implicit-def: $sgpr10
                                        ; implicit-def: $vgpr134
	s_nop 1
	v_writelane_b32 v206, s3, 11
	s_and_saveexec_b64 s[2:3], s[0:1]
	s_xor_b64 s[0:1], exec, s[2:3]
; %bb.9:
	s_mov_b32 s2, 0xf0f0f10
	v_mul_hi_u32 v1, v0, s2
	v_mul_u32_u24_e32 v1, 17, v1
	v_sub_u32_e32 v134, v0, v1
	s_mov_b32 s10, 0
                                        ; implicit-def: $vgpr0
                                        ; implicit-def: $vgpr76_vgpr77
; %bb.10:
	s_or_saveexec_b64 s[2:3], s[0:1]
	s_load_dwordx2 s[0:1], s[8:9], 0x0
	v_mov_b32_e32 v7, s10
	v_mov_b32_e32 v6, s10
                                        ; implicit-def: $vgpr1
                                        ; implicit-def: $vgpr16
                                        ; implicit-def: $vgpr28
                                        ; implicit-def: $vgpr14
                                        ; implicit-def: $vgpr30
                                        ; implicit-def: $vgpr12
                                        ; implicit-def: $vgpr32
                                        ; implicit-def: $vgpr26
                                        ; implicit-def: $vgpr34
                                        ; implicit-def: $vgpr24
                                        ; implicit-def: $vgpr36
                                        ; implicit-def: $vgpr22
                                        ; implicit-def: $vgpr38
                                        ; implicit-def: $vgpr20
                                        ; implicit-def: $vgpr58
                                        ; implicit-def: $vgpr60
                                        ; implicit-def: $vgpr62
                                        ; implicit-def: $vgpr64
                                        ; implicit-def: $vgpr66
                                        ; implicit-def: $vgpr75
                                        ; implicit-def: $vgpr70
                                        ; implicit-def: $vgpr54
                                        ; implicit-def: $vgpr56
                                        ; implicit-def: $vgpr8
                                        ; implicit-def: $vgpr18
                                        ; implicit-def: $vgpr10
                                        ; implicit-def: $vgpr73
                                        ; implicit-def: $vgpr41
                                        ; implicit-def: $vgpr44
                                        ; implicit-def: $vgpr42
                                        ; implicit-def: $vgpr50
                                        ; implicit-def: $vgpr48
                                        ; implicit-def: $vgpr46
                                        ; implicit-def: $vgpr52
	s_waitcnt lgkmcnt(0)
	v_writelane_b32 v206, s0, 12
	s_nop 1
	v_writelane_b32 v206, s1, 13
	s_xor_b64 exec, exec, s[2:3]
	s_cbranch_execz .LBB0_14
; %bb.11:
	s_add_u32 s0, s12, s6
	s_addc_u32 s1, s13, s7
	s_load_dwordx2 s[0:1], s[0:1], 0x0
	s_mov_b32 s6, 0xf0f0f10
	v_readlane_b32 s8, v206, 0
	v_readlane_b32 s9, v206, 1
	;; [unrolled: 1-line block ×3, first 2 shown]
	s_waitcnt lgkmcnt(0)
	v_mul_lo_u32 v1, s1, v4
	v_mul_lo_u32 v8, s0, v5
	v_mad_u64_u32 v[6:7], s[0:1], s0, v4, 0
	v_add3_u32 v7, v7, v8, v1
	v_mul_hi_u32 v1, v0, s6
	v_mul_u32_u24_e32 v1, 17, v1
	v_sub_u32_e32 v134, v0, v1
	v_mad_u64_u32 v[0:1], s[0:1], s4, v134, 0
	v_mov_b32_e32 v8, v1
	v_mad_u64_u32 v[8:9], s[0:1], s5, v134, v[8:9]
	v_lshl_add_u64 v[6:7], v[6:7], 3, s[8:9]
	v_add_u32_e32 v9, 25, v134
	v_lshl_add_u64 v[72:73], v[76:77], 3, v[6:7]
	v_mad_u64_u32 v[6:7], s[0:1], s4, v9, 0
	v_mov_b32_e32 v1, v8
	v_mov_b32_e32 v8, v7
	v_mad_u64_u32 v[8:9], s[0:1], s5, v9, v[8:9]
	v_add_u32_e32 v11, 50, v134
	v_mov_b32_e32 v7, v8
	v_mad_u64_u32 v[8:9], s[0:1], s4, v11, 0
	v_mov_b32_e32 v10, v9
	v_mad_u64_u32 v[10:11], s[0:1], s5, v11, v[10:11]
	v_add_u32_e32 v13, 0x4b, v134
	v_mov_b32_e32 v9, v10
	v_mad_u64_u32 v[10:11], s[0:1], s4, v13, 0
	v_mov_b32_e32 v12, v11
	v_mad_u64_u32 v[12:13], s[0:1], s5, v13, v[12:13]
	v_lshl_add_u64 v[0:1], v[0:1], 3, v[72:73]
	v_lshl_add_u64 v[6:7], v[6:7], 3, v[72:73]
	v_mov_b32_e32 v11, v12
	v_lshl_add_u64 v[8:9], v[8:9], 3, v[72:73]
	v_lshl_add_u64 v[12:13], v[10:11], 3, v[72:73]
	global_load_dwordx2 v[10:11], v[0:1], off
	global_load_dwordx2 v[40:41], v[6:7], off
	global_load_dwordx2 v[44:45], v[8:9], off
	global_load_dwordx2 v[42:43], v[12:13], off
	v_add_u32_e32 v7, 0x64, v134
	v_mad_u64_u32 v[0:1], s[0:1], s4, v7, 0
	v_mov_b32_e32 v6, v1
	v_mad_u64_u32 v[6:7], s[0:1], s5, v7, v[6:7]
	v_add_u32_e32 v9, 0x7d, v134
	v_mov_b32_e32 v1, v6
	v_mad_u64_u32 v[6:7], s[0:1], s4, v9, 0
	v_mov_b32_e32 v8, v7
	v_mad_u64_u32 v[8:9], s[0:1], s5, v9, v[8:9]
	v_add_u32_e32 v13, 0x96, v134
	v_mov_b32_e32 v7, v8
	v_mad_u64_u32 v[8:9], s[0:1], s4, v13, 0
	v_mov_b32_e32 v12, v9
	v_mad_u64_u32 v[12:13], s[0:1], s5, v13, v[12:13]
	v_add_u32_e32 v15, 0xaf, v134
	v_mov_b32_e32 v9, v12
	v_mad_u64_u32 v[12:13], s[0:1], s4, v15, 0
	v_mov_b32_e32 v14, v13
	v_mad_u64_u32 v[14:15], s[0:1], s5, v15, v[14:15]
	v_lshl_add_u64 v[0:1], v[0:1], 3, v[72:73]
	v_lshl_add_u64 v[6:7], v[6:7], 3, v[72:73]
	v_mov_b32_e32 v13, v14
	v_lshl_add_u64 v[8:9], v[8:9], 3, v[72:73]
	v_lshl_add_u64 v[12:13], v[12:13], 3, v[72:73]
	global_load_dwordx2 v[50:51], v[0:1], off
	global_load_dwordx2 v[48:49], v[6:7], off
	global_load_dwordx2 v[76:77], v[8:9], off
	global_load_dwordx2 v[46:47], v[12:13], off
	v_add_u32_e32 v7, 0xc8, v134
	v_mad_u64_u32 v[0:1], s[0:1], s4, v7, 0
	v_mov_b32_e32 v6, v1
	v_mad_u64_u32 v[6:7], s[0:1], s5, v7, v[6:7]
	v_add_u32_e32 v9, 0xe1, v134
	v_mov_b32_e32 v1, v6
	v_mad_u64_u32 v[6:7], s[0:1], s4, v9, 0
	;; [unrolled: 28-line block ×3, first 2 shown]
	v_mov_b32_e32 v8, v7
	v_mad_u64_u32 v[8:9], s[0:1], s5, v9, v[8:9]
	v_add_u32_e32 v13, 0x15e, v134
	v_mov_b32_e32 v7, v8
	v_mad_u64_u32 v[8:9], s[0:1], s4, v13, 0
	v_mov_b32_e32 v12, v9
	v_mad_u64_u32 v[12:13], s[0:1], s5, v13, v[12:13]
	v_add_u32_e32 v15, 0x177, v134
	v_mov_b32_e32 v9, v12
	v_mad_u64_u32 v[12:13], s[0:1], s4, v15, 0
	v_mov_b32_e32 v14, v13
	v_mad_u64_u32 v[14:15], s[0:1], s5, v15, v[14:15]
	v_lshl_add_u64 v[0:1], v[0:1], 3, v[72:73]
	v_lshl_add_u64 v[6:7], v[6:7], 3, v[72:73]
	v_mov_b32_e32 v13, v14
	v_lshl_add_u64 v[8:9], v[8:9], 3, v[72:73]
	v_lshl_add_u64 v[12:13], v[12:13], 3, v[72:73]
	global_load_dwordx2 v[66:67], v[0:1], off
	global_load_dwordx2 v[64:65], v[6:7], off
	;; [unrolled: 1-line block ×4, first 2 shown]
	v_add_u32_e32 v7, 0x190, v134
	v_mad_u64_u32 v[0:1], s[0:1], s4, v7, 0
	v_mov_b32_e32 v6, v1
	v_mad_u64_u32 v[6:7], s[0:1], s5, v7, v[6:7]
	v_mov_b32_e32 v1, v6
	v_lshl_add_u64 v[0:1], v[0:1], 3, v[72:73]
	global_load_dwordx2 v[58:59], v[0:1], off
	v_cmp_gt_u32_e64 s[0:1], 8, v134
	v_mov_b32_e32 v6, 0
	v_mov_b32_e32 v7, 0
	v_readlane_b32 s11, v206, 3
                                        ; implicit-def: $vgpr19
                                        ; implicit-def: $vgpr9
                                        ; implicit-def: $vgpr21
                                        ; implicit-def: $vgpr39
                                        ; implicit-def: $vgpr23
                                        ; implicit-def: $vgpr37
                                        ; implicit-def: $vgpr25
                                        ; implicit-def: $vgpr35
                                        ; implicit-def: $vgpr27
                                        ; implicit-def: $vgpr33
                                        ; implicit-def: $vgpr13
                                        ; implicit-def: $vgpr31
                                        ; implicit-def: $vgpr15
                                        ; implicit-def: $vgpr29
                                        ; implicit-def: $vgpr17
                                        ; implicit-def: $vgpr0
	s_and_saveexec_b64 s[6:7], s[0:1]
	s_cbranch_execz .LBB0_13
; %bb.12:
	v_add_u32_e32 v7, 17, v134
	v_mad_u64_u32 v[0:1], s[0:1], s4, v7, 0
	v_mov_b32_e32 v6, v1
	v_mad_u64_u32 v[6:7], s[0:1], s5, v7, v[6:7]
	v_add_u32_e32 v9, 42, v134
	v_mov_b32_e32 v1, v6
	v_mad_u64_u32 v[6:7], s[0:1], s4, v9, 0
	v_mov_b32_e32 v8, v7
	v_mad_u64_u32 v[8:9], s[0:1], s5, v9, v[8:9]
	v_mov_b32_e32 v7, v8
	v_lshl_add_u64 v[0:1], v[0:1], 3, v[72:73]
	v_lshl_add_u64 v[12:13], v[6:7], 3, v[72:73]
	global_load_dwordx2 v[6:7], v[0:1], off
	global_load_dwordx2 v[8:9], v[12:13], off
	v_add_u32_e32 v13, 0x43, v134
	v_mad_u64_u32 v[0:1], s[0:1], s4, v13, 0
	v_mov_b32_e32 v12, v1
	v_mad_u64_u32 v[12:13], s[0:1], s5, v13, v[12:13]
	v_mov_b32_e32 v1, v12
	v_add_u32_e32 v13, 0x5c, v134
	v_lshl_add_u64 v[18:19], v[0:1], 3, v[72:73]
	v_mad_u64_u32 v[0:1], s[0:1], s4, v13, 0
	v_mov_b32_e32 v12, v1
	v_mad_u64_u32 v[12:13], s[0:1], s5, v13, v[12:13]
	v_mov_b32_e32 v1, v12
	v_add_u32_e32 v13, 0x75, v134
	v_lshl_add_u64 v[74:75], v[0:1], 3, v[72:73]
	v_mad_u64_u32 v[0:1], s[0:1], s4, v13, 0
	v_mov_b32_e32 v12, v1
	v_mad_u64_u32 v[12:13], s[0:1], s5, v13, v[12:13]
	v_mov_b32_e32 v1, v12
	v_add_u32_e32 v13, 0x8e, v134
	v_lshl_add_u64 v[20:21], v[0:1], 3, v[72:73]
	v_mad_u64_u32 v[0:1], s[0:1], s4, v13, 0
	v_mov_b32_e32 v12, v1
	v_mad_u64_u32 v[12:13], s[0:1], s5, v13, v[12:13]
	v_mov_b32_e32 v1, v12
	v_add_u32_e32 v13, 0xa7, v134
	v_lshl_add_u64 v[22:23], v[0:1], 3, v[72:73]
	v_mad_u64_u32 v[0:1], s[0:1], s4, v13, 0
	v_mov_b32_e32 v12, v1
	v_mad_u64_u32 v[12:13], s[0:1], s5, v13, v[12:13]
	v_mov_b32_e32 v1, v12
	v_or_b32_e32 v13, 0xc0, v134
	v_lshl_add_u64 v[24:25], v[0:1], 3, v[72:73]
	v_mad_u64_u32 v[0:1], s[0:1], s4, v13, 0
	v_mov_b32_e32 v12, v1
	v_mad_u64_u32 v[12:13], s[0:1], s5, v13, v[12:13]
	v_mov_b32_e32 v1, v12
	v_add_u32_e32 v13, 0xd9, v134
	v_lshl_add_u64 v[26:27], v[0:1], 3, v[72:73]
	v_mad_u64_u32 v[0:1], s[0:1], s4, v13, 0
	v_mov_b32_e32 v12, v1
	v_mad_u64_u32 v[12:13], s[0:1], s5, v13, v[12:13]
	v_mov_b32_e32 v1, v12
	v_add_u32_e32 v13, 0xf2, v134
	;; [unrolled: 6-line block ×4, first 2 shown]
	v_lshl_add_u64 v[32:33], v[0:1], 3, v[72:73]
	v_mad_u64_u32 v[0:1], s[0:1], s4, v13, 0
	v_mov_b32_e32 v12, v1
	v_mad_u64_u32 v[12:13], s[0:1], s5, v13, v[12:13]
	v_mov_b32_e32 v1, v12
	v_lshl_add_u64 v[34:35], v[0:1], 3, v[72:73]
	global_load_dwordx2 v[16:17], v[28:29], off
	global_load_dwordx2 v[0:1], v[30:31], off
	;; [unrolled: 1-line block ×4, first 2 shown]
	v_add_u32_e32 v31, 0x13d, v134
	v_mad_u64_u32 v[28:29], s[0:1], s4, v31, 0
	v_mov_b32_e32 v30, v29
	v_mad_u64_u32 v[30:31], s[0:1], s5, v31, v[30:31]
	v_mov_b32_e32 v29, v30
	v_add_u32_e32 v31, 0x156, v134
	v_lshl_add_u64 v[78:79], v[28:29], 3, v[72:73]
	v_mad_u64_u32 v[28:29], s[0:1], s4, v31, 0
	v_mov_b32_e32 v30, v29
	v_mad_u64_u32 v[30:31], s[0:1], s5, v31, v[30:31]
	v_mov_b32_e32 v29, v30
	v_lshl_add_u64 v[80:81], v[28:29], 3, v[72:73]
	global_load_dwordx2 v[28:29], v[26:27], off
	global_load_dwordx2 v[30:31], v[24:25], off
	;; [unrolled: 1-line block ×4, first 2 shown]
	v_add_u32_e32 v23, 0x16f, v134
	v_mad_u64_u32 v[20:21], s[0:1], s4, v23, 0
	v_mov_b32_e32 v22, v21
	v_mad_u64_u32 v[22:23], s[0:1], s5, v23, v[22:23]
	v_mov_b32_e32 v21, v22
	v_or_b32_e32 v23, 0x188, v134
	v_lshl_add_u64 v[82:83], v[20:21], 3, v[72:73]
	v_mad_u64_u32 v[20:21], s[0:1], s4, v23, 0
	v_mov_b32_e32 v22, v21
	v_mad_u64_u32 v[22:23], s[0:1], s5, v23, v[22:23]
	v_mov_b32_e32 v21, v22
	v_add_u32_e32 v69, 0x1a1, v134
	v_lshl_add_u64 v[84:85], v[20:21], 3, v[72:73]
	global_load_dwordx2 v[36:37], v[74:75], off
	global_load_dwordx2 v[38:39], v[18:19], off
	;; [unrolled: 1-line block ×6, first 2 shown]
	v_mad_u64_u32 v[18:19], s[0:1], s4, v69, 0
	v_mov_b32_e32 v74, v19
	v_mad_u64_u32 v[74:75], s[0:1], s5, v69, v[74:75]
	v_mov_b32_e32 v19, v74
	v_lshl_add_u64 v[18:19], v[18:19], 3, v[72:73]
	global_load_dwordx2 v[18:19], v[18:19], off
.LBB0_13:
	s_or_b64 exec, exec, s[6:7]
	s_waitcnt vmcnt(5)
	v_mov_b32_e32 v75, v70
	v_mov_b32_e32 v70, v71
	;; [unrolled: 1-line block ×5, first 2 shown]
.LBB0_14:
	s_or_b64 exec, exec, s[2:3]
	v_add_f32_e32 v71, v10, v73
	v_add_f32_e32 v71, v71, v44
	;; [unrolled: 1-line block ×3, first 2 shown]
	s_mov_b32 s0, 0xaaaaaaab
	s_mov_b32 s60, 0xbf06c442
	v_add_f32_e32 v71, v71, v50
	s_mov_b32 s38, 0xbf4c4adb
	v_mul_hi_u32 v69, v68, s0
	s_waitcnt vmcnt(0)
	v_pk_add_f32 v[76:77], v[40:41], v[58:59] neg_lo:[0,1] neg_hi:[0,1]
	s_mov_b32 s61, 0xbf59a7d5
	v_add_f32_e32 v78, v71, v48
	s_mov_b32 s39, 0xbf1a4643
	v_mov_b32_e32 v79, v58
	s_mov_b32 s0, s38
	s_mov_b32 s1, s60
	;; [unrolled: 1-line block ×5, first 2 shown]
	v_pk_add_f32 v[78:79], v[78:79], v[72:73]
	s_mov_b32 s25, 0x3f763a35
	v_writelane_b32 v206, s0, 14
	s_mov_b32 s20, s39
	s_mov_b32 s21, s61
	v_pk_mul_f32 v[80:81], v[76:77], s[0:1] op_sel:[1,0]
	s_mov_b32 s23, 0x3ee437d1
	s_mov_b32 s3, 0xbe8c1d8e
	v_writelane_b32 v206, s1, 15
	s_mov_b32 s0, s25
	s_mov_b32 s1, s6
	v_pk_fma_f32 v[82:83], v[78:79], s[20:21], v[80:81] op_sel:[1,0,0] neg_lo:[0,0,1] neg_hi:[0,0,1]
	v_pk_add_f32 v[110:111], v[44:45], v[60:61] neg_lo:[0,1] neg_hi:[0,1]
	s_mov_b32 s8, s3
	s_mov_b32 s9, s23
	v_pk_add_f32 v[84:85], v[82:83], v[10:11] op_sel_hi:[1,0]
	v_pk_add_f32 v[104:105], v[60:61], v[44:45]
	v_writelane_b32 v206, s0, 16
	s_mov_b32 s63, 0xbeb8f4ab
	s_mov_b32 s14, 0xbf7ee86f
	v_pk_mul_f32 v[82:83], v[110:111], s[0:1] op_sel:[1,0]
	v_writelane_b32 v206, s1, 17
	v_pk_fma_f32 v[86:87], v[104:105], s[8:9], v[82:83] op_sel_hi:[0,1,1] neg_lo:[0,0,1] neg_hi:[0,0,1]
	s_mov_b32 s59, 0x3f6eb680
	s_mov_b32 s15, 0x3dbcf732
	;; [unrolled: 1-line block ×4, first 2 shown]
	v_pk_add_f32 v[114:115], v[42:43], v[62:63] neg_lo:[0,1] neg_hi:[0,1]
	v_pk_add_f32 v[86:87], v[84:85], v[86:87]
	s_mov_b32 s30, s59
	s_mov_b32 s31, s15
	v_pk_add_f32 v[106:107], v[62:63], v[42:43]
	v_writelane_b32 v206, s0, 18
	s_mov_b32 s54, 0x3f4c4adb
	v_pk_add_f32 v[118:119], v[50:51], v[64:65] neg_lo:[0,1] neg_hi:[0,1]
	v_pk_mul_f32 v[84:85], v[114:115], s[0:1] op_sel:[1,0]
	v_writelane_b32 v206, s1, 19
	v_pk_fma_f32 v[88:89], v[106:107], s[30:31], v[84:85] op_sel_hi:[0,1,1] neg_lo:[0,0,1] neg_hi:[0,0,1]
	s_mov_b32 s0, s60
	s_mov_b32 s1, s54
	v_pk_add_f32 v[86:87], v[86:87], v[88:89]
	s_mov_b32 s34, s61
	s_mov_b32 s35, s39
	v_pk_add_f32 v[108:109], v[64:65], v[50:51]
	v_writelane_b32 v206, s0, 20
	s_mov_b32 s77, 0x3f7ee86f
	v_pk_add_f32 v[122:123], v[48:49], v[66:67] neg_lo:[0,1] neg_hi:[0,1]
	v_pk_mul_f32 v[88:89], v[118:119], s[0:1] op_sel:[1,0]
	v_writelane_b32 v206, s1, 21
	v_pk_fma_f32 v[90:91], v[108:109], s[34:35], v[88:89] op_sel_hi:[0,1,1] neg_lo:[0,0,1] neg_hi:[0,0,1]
	s_mov_b32 s0, s77
	s_mov_b32 s1, s63
	v_pk_add_f32 v[86:87], v[86:87], v[90:91]
	s_mov_b32 s36, s15
	s_mov_b32 s37, s59
	v_pk_add_f32 v[112:113], v[66:67], v[48:49]
	v_writelane_b32 v206, s0, 22
	s_mov_b32 s10, 0xbe3c28d5
	s_mov_b32 s48, 0xbf2c7751
	v_pk_mul_f32 v[90:91], v[122:123], s[0:1] op_sel:[1,0]
	v_mov_b32_e32 v74, v40
	v_pk_fma_f32 v[92:93], v[112:113], s[36:37], v[90:91] op_sel_hi:[0,1,1] neg_lo:[0,0,1] neg_hi:[0,0,1]
	v_mov_b32_e32 v71, v72
	v_writelane_b32 v206, s1, 23
	v_pk_add_f32 v[94:95], v[86:87], v[92:93]
	s_mov_b32 s11, 0xbf7ba420
	s_mov_b32 s49, 0x3f3d2fb0
	s_mov_b32 s0, s48
	s_mov_b32 s1, s10
	v_pk_add_f32 v[86:87], v[74:75], v[70:71] neg_lo:[0,1] neg_hi:[0,1]
	s_mov_b32 s12, 0x3f06c442
	s_mov_b32 s40, s49
	;; [unrolled: 1-line block ×3, first 2 shown]
	v_pk_add_f32 v[116:117], v[74:75], v[70:71]
	v_writelane_b32 v206, s0, 24
	s_mov_b32 s13, 0x3f2c7751
	v_pk_add_f32 v[128:129], v[46:47], v[54:55] neg_lo:[0,1] neg_hi:[0,1]
	v_pk_mul_f32 v[92:93], v[86:87], s[0:1] op_sel_hi:[0,1]
	v_writelane_b32 v206, s1, 25
	v_pk_fma_f32 v[96:97], v[116:117], s[40:41], v[92:93] op_sel:[1,0,0] neg_lo:[0,0,1] neg_hi:[0,0,1]
	s_mov_b32 s0, s10
	s_mov_b32 s1, s13
	v_pk_add_f32 v[96:97], v[94:95], v[96:97]
	s_mov_b32 s44, s11
	s_mov_b32 s45, s49
	v_pk_add_f32 v[120:121], v[54:55], v[46:47]
	v_writelane_b32 v206, s0, 26
	s_mov_b32 s56, s6
	s_mov_b32 s57, s2
	v_pk_mul_f32 v[94:95], v[128:129], s[0:1] op_sel:[1,0]
	v_pk_add_f32 v[124:125], v[52:53], v[56:57] neg_lo:[0,1] neg_hi:[0,1]
	v_pk_fma_f32 v[98:99], v[120:121], s[44:45], v[94:95] op_sel_hi:[0,1,1] neg_lo:[0,0,1] neg_hi:[0,0,1]
	v_pk_add_f32 v[98:99], v[96:97], v[98:99]
	s_mov_b32 s46, s23
	s_mov_b32 s47, s3
	v_pk_add_f32 v[126:127], v[56:57], v[52:53]
	v_pk_mul_f32 v[96:97], v[124:125], s[56:57] op_sel:[1,0]
	s_mov_b32 s70, s14
	v_pk_fma_f32 v[100:101], v[126:127], s[46:47], v[96:97] op_sel_hi:[0,1,1] neg_lo:[0,0,1] neg_hi:[0,0,1]
	s_mov_b32 s71, s2
	v_pk_add_f32 v[98:99], v[98:99], v[100:101]
	s_mov_b32 s72, s10
	s_mov_b32 s73, s12
	;; [unrolled: 1-line block ×4, first 2 shown]
	v_pk_mul_f32 v[100:101], v[76:77], s[70:71] op_sel:[1,0]
	s_mov_b32 s66, s11
	s_mov_b32 s67, s61
	v_pk_fma_f32 v[102:103], v[78:79], s[64:65], v[100:101] op_sel:[1,0,0] neg_lo:[0,0,1] neg_hi:[0,0,1]
	v_pk_mul_f32 v[132:133], v[110:111], s[72:73] op_sel:[1,0]
	s_mov_b32 s86, s25
	s_mov_b32 s87, s13
	s_mov_b32 s94, 0x3eb8f4ab
	v_pk_add_f32 v[102:103], v[102:103], v[10:11] op_sel_hi:[1,0]
	v_pk_fma_f32 v[130:131], v[104:105], s[66:67], v[132:133] op_sel_hi:[0,1,1] neg_lo:[0,0,1] neg_hi:[0,0,1]
	s_mov_b32 s68, s3
	s_mov_b32 s69, s49
	v_pk_mul_f32 v[136:137], v[114:115], s[86:87] op_sel:[1,0]
	s_mov_b32 s88, s94
	s_mov_b32 s89, s22
	v_pk_add_f32 v[102:103], v[102:103], v[130:131]
	v_pk_fma_f32 v[130:131], v[106:107], s[68:69], v[136:137] op_sel_hi:[0,1,1] neg_lo:[0,0,1] neg_hi:[0,0,1]
	s_mov_b32 s74, s59
	s_mov_b32 s75, s23
	v_pk_mul_f32 v[138:139], v[118:119], s[88:89] op_sel:[1,0]
	s_mov_b32 s90, s22
	s_mov_b32 s91, s10
	v_pk_add_f32 v[102:103], v[102:103], v[130:131]
	v_pk_fma_f32 v[130:131], v[108:109], s[74:75], v[138:139] op_sel_hi:[0,1,1] neg_lo:[0,0,1] neg_hi:[0,0,1]
	s_mov_b32 s78, s23
	s_mov_b32 s79, s11
	v_pk_mul_f32 v[140:141], v[122:123], s[90:91] op_sel:[1,0]
	s_mov_b32 s76, s60
	v_pk_add_f32 v[102:103], v[102:103], v[130:131]
	v_pk_fma_f32 v[130:131], v[112:113], s[78:79], v[140:141] op_sel_hi:[0,1,1] neg_lo:[0,0,1] neg_hi:[0,0,1]
	s_mov_b32 s82, s61
	s_mov_b32 s83, s15
	v_pk_mul_f32 v[142:143], v[86:87], s[76:77] op_sel_hi:[0,1]
	s_mov_b32 s55, s63
	v_lshrrev_b32_e32 v42, 1, v69
	v_pk_add_f32 v[102:103], v[102:103], v[130:131]
	v_pk_fma_f32 v[130:131], v[116:117], s[82:83], v[142:143] op_sel:[1,0,0] neg_lo:[0,0,1] neg_hi:[0,0,1]
	s_mov_b32 s80, s39
	s_mov_b32 s81, s59
	v_pk_mul_f32 v[144:145], v[128:129], s[54:55] op_sel:[1,0]
	s_mov_b32 s92, s13
	s_mov_b32 s93, s38
	v_lshl_add_u32 v42, v42, 1, v42
	v_writelane_b32 v206, s1, 27
	s_movk_i32 s0, 0x44
	v_pk_add_f32 v[102:103], v[102:103], v[130:131]
	v_pk_fma_f32 v[130:131], v[120:121], s[80:81], v[144:145] op_sel_hi:[0,1,1] neg_lo:[0,0,1] neg_hi:[0,0,1]
	s_mov_b32 s84, s49
	s_mov_b32 s85, s39
	v_pk_mul_f32 v[146:147], v[124:125], s[92:93] op_sel:[1,0]
	v_sub_u32_e32 v42, v68, v42
	v_mad_u32_u24 v50, v134, s0, 0
	v_pk_add_f32 v[102:103], v[102:103], v[130:131]
	v_pk_fma_f32 v[130:131], v[126:127], s[84:85], v[146:147] op_sel_hi:[0,1,1] neg_lo:[0,0,1] neg_hi:[0,0,1]
	s_mov_b32 s50, s48
	s_mov_b32 s51, s22
	v_mul_u32_u24_e32 v42, 0x1a9, v42
	v_pk_add_f32 v[102:103], v[102:103], v[130:131]
	s_mov_b32 s42, s14
	s_mov_b32 s43, s38
	s_mov_b32 s96, s49
	s_mov_b32 s97, s23
	v_pk_mul_f32 v[148:149], v[76:77], s[50:51] op_sel:[1,0]
	v_lshl_add_u32 v135, v42, 2, v50
	v_mov_b32_e32 v48, v103
	s_mov_b32 s98, s15
	s_mov_b32 s99, s39
	v_pk_fma_f32 v[130:131], v[78:79], s[96:97], v[148:149] op_sel:[1,0,0] neg_lo:[0,0,1] neg_hi:[0,0,1]
	v_pk_mul_f32 v[150:151], v[110:111], s[42:43] op_sel:[1,0]
	s_mov_b32 s27, 0x3e3c28d5
	s_mov_b32 s26, s38
	ds_write2_b32 v135, v99, v98 offset0:10 offset1:11
	v_mov_b32_e32 v99, v102
	v_pk_fma_f32 v[152:153], v[104:105], s[98:99], v[150:151] op_sel_hi:[0,1,1] neg_lo:[0,0,1] neg_hi:[0,0,1]
	s_mov_b32 s18, s39
	s_mov_b32 s19, s11
	v_pk_mul_f32 v[154:155], v[114:115], s[26:27] op_sel:[1,0]
	s_mov_b32 s24, s10
	ds_write2_b32 v135, v48, v99 offset0:12 offset1:13
	v_pk_add_f32 v[98:99], v[130:131], v[10:11] op_sel_hi:[1,0]
	v_pk_fma_f32 v[156:157], v[106:107], s[18:19], v[154:155] op_sel_hi:[0,1,1] neg_lo:[0,0,1] neg_hi:[0,0,1]
	s_mov_b32 s28, s11
	s_mov_b32 s29, s3
	v_pk_mul_f32 v[158:159], v[118:119], s[24:25] op_sel:[1,0]
	v_pk_add_f32 v[98:99], v[98:99], v[152:153]
	v_pk_fma_f32 v[160:161], v[108:109], s[28:29], v[158:159] op_sel_hi:[0,1,1] neg_lo:[0,0,1] neg_hi:[0,0,1]
	s_mov_b32 s4, s61
	s_mov_b32 s5, s49
	v_pk_mul_f32 v[162:163], v[122:123], s[12:13] op_sel:[1,0]
	s_mov_b32 s62, s25
	v_mov_b32_e32 v68, v115
	v_mov_b32_e32 v69, v106
	;; [unrolled: 1-line block ×4, first 2 shown]
	v_pk_add_f32 v[98:99], v[98:99], v[156:157]
	v_pk_fma_f32 v[164:165], v[112:113], s[4:5], v[162:163] op_sel_hi:[0,1,1] neg_lo:[0,0,1] neg_hi:[0,0,1]
	s_mov_b32 s58, s3
	v_pk_mul_f32 v[166:167], v[86:87], s[62:63] op_sel_hi:[0,1]
	s_mov_b32 s7, s14
	v_pk_mul_f32 v[102:103], v[68:69], s[22:23]
	v_pk_mul_f32 v[152:153], v[130:131], s[14:15]
	v_pk_add_f32 v[98:99], v[98:99], v[160:161]
	v_pk_fma_f32 v[168:169], v[116:117], s[58:59], v[166:167] op_sel:[1,0,0] neg_lo:[0,0,1] neg_hi:[0,0,1]
	s_mov_b32 s0, s23
	s_mov_b32 s1, s15
	v_pk_mul_f32 v[170:171], v[128:129], s[6:7] op_sel:[1,0]
	s_mov_b32 s95, s60
	v_mov_b32_e32 v183, v102
	v_mov_b32_e32 v157, v152
	v_pk_add_f32 v[98:99], v[98:99], v[164:165]
	v_mov_b32_e32 v156, v129
	v_pk_fma_f32 v[172:173], v[120:121], s[0:1], v[170:171] op_sel_hi:[0,1,1] neg_lo:[0,0,1] neg_hi:[0,0,1]
	s_mov_b32 s12, s59
	s_mov_b32 s13, s61
	v_pk_mul_f32 v[174:175], v[124:125], s[94:95] op_sel:[1,0]
	v_mov_b32_e32 v178, v111
	v_mov_b32_e32 v179, v104
	v_pk_add_f32 v[98:99], v[98:99], v[168:169]
	v_pk_fma_f32 v[68:69], v[68:69], s[22:23], v[182:183]
	v_pk_fma_f32 v[182:183], v[130:131], s[14:15], v[156:157]
	v_mov_b32_e32 v157, v120
	v_pk_fma_f32 v[176:177], v[126:127], s[12:13], v[174:175] op_sel_hi:[0,1,1] neg_lo:[0,0,1] neg_hi:[0,0,1]
	v_pk_mul_f32 v[180:181], v[178:179], s[48:49]
	v_mov_b32_e32 v160, v123
	v_mov_b32_e32 v161, v112
	v_pk_add_f32 v[98:99], v[98:99], v[172:173]
	v_mov_b32_e32 v172, v86
	v_mov_b32_e32 v173, v117
	v_pk_mul_f32 v[184:185], v[156:157], s[60:61]
	v_mov_b32_e32 v87, v180
	v_pk_mul_f32 v[164:165], v[160:161], s[2:3]
	v_pk_add_f32 v[98:99], v[98:99], v[176:177]
	v_pk_mul_f32 v[176:177], v[172:173], s[38:39]
	v_mov_b32_e32 v131, v184
	v_mov_b32_e32 v130, v125
	;; [unrolled: 1-line block ×3, first 2 shown]
	v_pk_fma_f32 v[178:179], v[178:179], s[48:49], v[86:87]
	v_mov_b32_e32 v87, v176
	v_pk_fma_f32 v[156:157], v[156:157], s[60:61], v[130:131]
	v_mov_b32_e32 v131, v126
	v_pk_fma_f32 v[160:161], v[160:161], s[2:3], v[168:169]
	v_pk_fma_f32 v[168:169], v[172:173], s[38:39], v[86:87]
	v_pk_mul_f32 v[172:173], v[130:131], s[10:11]
	v_pk_add_f32 v[188:189], v[78:79], v[46:47]
	v_mov_b32_e32 v87, v172
	v_pk_fma_f32 v[186:187], v[130:131], s[10:11], v[86:87]
	v_mov_b32_e32 v131, 0x3f6eb680
	v_mov_b32_e32 v130, v46
	v_pk_mul_f32 v[190:191], v[78:79], v[130:131]
	v_mul_f32_e32 v193, 0xbeb8f4ab, v77
	v_mov_b32_e32 v189, v191
	v_mov_b32_e32 v192, v52
	v_pk_add_f32 v[188:189], v[188:189], v[192:193]
	v_mov_b32_e32 v192, v56
	v_mov_b32_e32 v193, v10
	v_pk_add_f32 v[188:189], v[188:189], v[192:193]
	v_mov_b32_e32 v178, v54
	v_pk_add_f32 v[178:179], v[178:179], v[188:189]
	;; [unrolled: 2-line block ×7, first 2 shown]
	v_mov_b32_e32 v186, v58
	ds_write2_b32 v135, v99, v98 offset0:14 offset1:15
	v_pk_add_f32 v[68:69], v[186:187], v[68:69]
	v_pk_fma_f32 v[98:99], v[78:79], s[96:97], v[148:149] op_sel:[1,0,0]
	ds_write2_b32 v135, v68, v69 offset1:1
	v_pk_fma_f32 v[68:69], v[104:105], s[98:99], v[150:151] op_sel_hi:[0,1,1]
	v_pk_add_f32 v[98:99], v[98:99], v[10:11] op_sel_hi:[1,0]
	v_pk_fma_f32 v[80:81], v[78:79], s[20:21], v[80:81] op_sel:[1,0,0]
	v_pk_add_f32 v[68:69], v[98:99], v[68:69]
	v_pk_fma_f32 v[98:99], v[106:107], s[18:19], v[154:155] op_sel_hi:[0,1,1]
	v_pk_add_f32 v[68:69], v[68:69], v[98:99]
	v_pk_fma_f32 v[98:99], v[108:109], s[28:29], v[158:159] op_sel_hi:[0,1,1]
	;; [unrolled: 2-line block ×3, first 2 shown]
	v_pk_add_f32 v[68:69], v[68:69], v[98:99]
	v_pk_fma_f32 v[98:99], v[116:117], s[58:59], v[166:167] op_sel:[1,0,0]
	v_pk_add_f32 v[80:81], v[80:81], v[10:11] op_sel_hi:[1,0]
	v_pk_add_f32 v[68:69], v[68:69], v[98:99]
	v_pk_fma_f32 v[98:99], v[120:121], s[0:1], v[170:171] op_sel_hi:[0,1,1]
	v_pk_add_f32 v[68:69], v[68:69], v[98:99]
	v_pk_fma_f32 v[98:99], v[126:127], s[12:13], v[174:175] op_sel_hi:[0,1,1]
	v_pk_add_f32 v[68:69], v[68:69], v[98:99]
	v_pk_fma_f32 v[98:99], v[78:79], s[64:65], v[100:101] op_sel:[1,0,0]
	ds_write2_b32 v135, v68, v69 offset0:2 offset1:3
	v_pk_fma_f32 v[68:69], v[104:105], s[66:67], v[132:133] op_sel_hi:[0,1,1]
	v_pk_add_f32 v[98:99], v[98:99], v[10:11] op_sel_hi:[1,0]
	v_mul_f32_e32 v44, 0x3f6eb680, v104
	v_pk_add_f32 v[68:69], v[98:99], v[68:69]
	v_pk_fma_f32 v[98:99], v[106:107], s[68:69], v[136:137] op_sel_hi:[0,1,1]
	v_pk_add_f32 v[68:69], v[68:69], v[98:99]
	v_pk_fma_f32 v[98:99], v[108:109], s[74:75], v[138:139] op_sel_hi:[0,1,1]
	;; [unrolled: 2-line block ×3, first 2 shown]
	v_pk_add_f32 v[68:69], v[68:69], v[98:99]
	v_pk_fma_f32 v[98:99], v[116:117], s[82:83], v[142:143] op_sel:[1,0,0]
	v_mul_f32_e32 v46, 0x3eb8f4ab, v111
	v_pk_add_f32 v[68:69], v[68:69], v[98:99]
	v_pk_fma_f32 v[98:99], v[120:121], s[80:81], v[144:145] op_sel_hi:[0,1,1]
	v_pk_add_f32 v[68:69], v[68:69], v[98:99]
	v_pk_fma_f32 v[98:99], v[126:127], s[84:85], v[146:147] op_sel_hi:[0,1,1]
	v_pk_add_f32 v[68:69], v[68:69], v[98:99]
	ds_write2_b32 v135, v68, v69 offset0:4 offset1:5
	v_pk_fma_f32 v[68:69], v[104:105], s[8:9], v[82:83] op_sel_hi:[0,1,1]
	v_pk_add_f32 v[68:69], v[80:81], v[68:69]
	v_pk_fma_f32 v[80:81], v[106:107], s[30:31], v[84:85] op_sel_hi:[0,1,1]
	v_pk_add_f32 v[68:69], v[68:69], v[80:81]
	;; [unrolled: 2-line block ×4, first 2 shown]
	v_pk_fma_f32 v[80:81], v[116:117], s[40:41], v[92:93] op_sel:[1,0,0]
	v_fmac_f32_e32 v191, 0x3eb8f4ab, v77
	v_pk_add_f32 v[68:69], v[68:69], v[80:81]
	v_pk_fma_f32 v[80:81], v[120:121], s[44:45], v[94:95] op_sel_hi:[0,1,1]
	v_pk_add_f32 v[68:69], v[68:69], v[80:81]
	v_pk_fma_f32 v[80:81], v[126:127], s[46:47], v[96:97] op_sel_hi:[0,1,1]
	v_pk_add_f32 v[68:69], v[68:69], v[80:81]
	ds_write2_b32 v135, v68, v69 offset0:6 offset1:7
	v_pk_add_f32 v[68:69], v[44:45], v[46:47]
	v_pk_add_f32 v[80:81], v[44:45], v[46:47] neg_lo:[0,1] neg_hi:[0,1]
	v_mul_f32_e32 v44, 0xbf59a7d5, v106
	v_mul_f32_e32 v46, 0xbf06c442, v115
	v_mov_b32_e32 v69, v80
	v_pk_add_f32 v[80:81], v[44:45], v[46:47]
	v_pk_add_f32 v[82:83], v[44:45], v[46:47] neg_lo:[0,1] neg_hi:[0,1]
	v_mul_f32_e32 v44, 0x3f3d2fb0, v108
	v_mul_f32_e32 v46, 0x3f2c7751, v119
	v_mov_b32_e32 v81, v82
	;; [unrolled: 5-line block ×6, first 2 shown]
	v_pk_add_f32 v[90:91], v[44:45], v[46:47]
	v_pk_add_f32 v[92:93], v[44:45], v[46:47] neg_lo:[0,1] neg_hi:[0,1]
	v_mul_f32_e32 v44, 0xbe3c28d5, v77
	v_mul_f32_e32 v46, 0xbf7ba420, v79
	v_pk_add_f32 v[76:77], v[46:47], v[44:45]
	v_pk_add_f32 v[78:79], v[46:47], v[44:45] neg_lo:[0,1] neg_hi:[0,1]
	v_sub_f32_e32 v44, v181, v180
	v_mov_b32_e32 v77, v78
	v_pk_add_f32 v[76:77], v[76:77], v[10:11] op_sel_hi:[1,0]
	v_add_f32_e32 v60, v191, v10
	v_pk_add_f32 v[68:69], v[76:77], v[68:69]
	v_sub_f32_e32 v46, v103, v102
	v_pk_add_f32 v[68:69], v[68:69], v[80:81]
	v_add_f32_e32 v44, v60, v44
	v_pk_add_f32 v[68:69], v[68:69], v[82:83]
	v_sub_f32_e32 v48, v153, v152
	v_add_f32_e32 v44, v44, v46
	v_pk_add_f32 v[68:69], v[68:69], v[84:85]
	v_sub_f32_e32 v50, v165, v164
	;; [unrolled: 3-line block ×3, first 2 shown]
	v_add_f32_e32 v44, v44, v50
	v_mov_b32_e32 v91, v92
	v_pk_add_f32 v[68:69], v[68:69], v[88:89]
	v_sub_f32_e32 v54, v185, v184
	v_add_f32_e32 v44, v44, v52
	v_pk_add_f32 v[68:69], v[68:69], v[90:91]
	v_sub_f32_e32 v56, v173, v172
	v_add_f32_e32 v44, v44, v54
	ds_write2_b32 v135, v68, v69 offset0:8 offset1:9
	v_add_f32_e32 v44, v44, v56
	v_pk_add_f32 v[102:103], v[8:9], v[18:19] neg_lo:[0,1] neg_hi:[0,1]
	v_pk_add_f32 v[80:81], v[38:39], v[20:21]
	v_pk_add_f32 v[100:101], v[38:39], v[20:21] neg_lo:[0,1] neg_hi:[0,1]
	v_pk_add_f32 v[82:83], v[36:37], v[22:23]
	;; [unrolled: 2-line block ×7, first 2 shown]
	v_pk_add_f32 v[76:77], v[16:17], v[0:1] neg_lo:[0,1] neg_hi:[0,1]
	v_cmp_gt_u32_e32 vcc, 8, v134
	ds_write_b32 v135, v44 offset:64
	s_and_saveexec_b64 s[52:53], vcc
	s_cbranch_execz .LBB0_16
; %bb.15:
	v_mov_b32_e32 v136, v101
	v_mov_b32_e32 v137, v80
	;; [unrolled: 1-line block ×4, first 2 shown]
	v_pk_mul_f32 v[150:151], v[136:137], s[48:49]
	v_pk_mul_f32 v[152:153], v[138:139], s[22:23]
	v_sub_f32_e32 v148, v151, v150
	v_mov_b32_e32 v151, v150
	v_mov_b32_e32 v130, v6
	v_sub_f32_e32 v165, v153, v152
	v_pk_fma_f32 v[136:137], v[136:137], s[48:49], v[150:151]
	v_mov_b32_e32 v151, v152
	v_pk_add_f32 v[152:153], v[130:131], v[8:9]
	v_mov_b32_e32 v140, v97
	v_pk_add_f32 v[152:153], v[152:153], v[38:39]
	v_mov_b32_e32 v141, v84
	v_pk_add_f32 v[152:153], v[152:153], v[36:37]
	v_pk_mul_f32 v[154:155], v[140:141], s[14:15]
	v_pk_add_f32 v[152:153], v[152:153], v[34:35]
	v_mov_b32_e32 v142, v95
	v_pk_add_f32 v[152:153], v[152:153], v[32:33]
	v_mov_b32_e32 v143, v86
	v_sub_f32_e32 v167, v155, v154
	v_pk_fma_f32 v[138:139], v[138:139], s[22:23], v[150:151]
	v_mov_b32_e32 v151, v154
	v_mov_b32_e32 v153, v8
	;; [unrolled: 1-line block ×4, first 2 shown]
	v_pk_mul_f32 v[156:157], v[142:143], s[2:3]
	v_pk_add_f32 v[152:153], v[152:153], v[154:155]
	v_mov_b32_e32 v130, v28
	v_sub_f32_e32 v170, v157, v156
	v_pk_fma_f32 v[140:141], v[140:141], s[14:15], v[150:151]
	v_mov_b32_e32 v151, v156
	v_pk_add_f32 v[154:155], v[152:153], v[28:29]
	v_pk_mul_f32 v[156:157], v[152:153], v[130:131]
	v_mov_b32_e32 v133, v6
	v_mov_b32_e32 v155, v157
	v_fmac_f32_e32 v157, 0x3eb8f4ab, v103
	v_add_f32_e32 v6, v6, v157
	v_mul_f32_e32 v149, 0xbeb8f4ab, v103
	v_add_f32_e32 v6, v6, v148
	v_mov_b32_e32 v148, v16
	v_mov_b32_e32 v132, v0
	v_pk_add_f32 v[148:149], v[154:155], v[148:149]
	v_mov_b32_e32 v144, v93
	v_mov_b32_e32 v145, v88
	v_pk_add_f32 v[148:149], v[148:149], v[132:133]
	v_mov_b32_e32 v136, v14
	v_mov_b32_e32 v146, v91
	v_mov_b32_e32 v147, v78
	v_pk_mul_f32 v[158:159], v[144:145], s[38:39]
	v_pk_add_f32 v[136:137], v[136:137], v[148:149]
	v_mov_b32_e32 v138, v12
	v_pk_mul_f32 v[160:161], v[146:147], s[60:61]
	v_mov_b32_e32 v162, v77
	v_mov_b32_e32 v163, v68
	v_pk_fma_f32 v[142:143], v[142:143], s[2:3], v[150:151]
	v_mov_b32_e32 v151, v158
	v_pk_add_f32 v[136:137], v[138:139], v[136:137]
	v_mov_b32_e32 v140, v26
	v_pk_mul_f32 v[168:169], v[162:163], s[10:11]
	v_pk_fma_f32 v[144:145], v[144:145], s[38:39], v[150:151]
	v_mov_b32_e32 v151, v160
	v_pk_add_f32 v[136:137], v[140:141], v[136:137]
	v_mov_b32_e32 v142, v24
	v_pk_fma_f32 v[146:147], v[146:147], s[60:61], v[150:151]
	v_mov_b32_e32 v151, v168
	v_pk_add_f32 v[136:137], v[142:143], v[136:137]
	v_mov_b32_e32 v144, v22
	v_pk_fma_f32 v[150:151], v[162:163], s[10:11], v[150:151]
	v_pk_add_f32 v[136:137], v[144:145], v[136:137]
	v_mov_b32_e32 v146, v20
	v_pk_add_f32 v[136:137], v[146:147], v[136:137]
	v_mov_b32_e32 v150, v18
	v_sub_f32_e32 v159, v159, v158
	v_add_u32_e32 v158, 0x484, v135
	v_pk_add_f32 v[136:137], v[150:151], v[136:137]
	v_pk_mul_f32 v[150:151], v[102:103], s[50:51] op_sel:[1,0]
	v_add_f32_e32 v6, v6, v165
	ds_write2_b32 v158, v136, v137 offset1:1
	v_pk_mul_f32 v[136:137], v[100:101], s[42:43] op_sel:[1,0]
	v_pk_fma_f32 v[172:173], v[152:153], s[96:97], v[150:151] op_sel:[1,0,0]
	v_add_f32_e32 v6, v6, v167
	v_pk_mul_f32 v[138:139], v[98:99], s[26:27] op_sel:[1,0]
	s_mov_b32 s16, 0x3f06c442
	v_pk_fma_f32 v[154:155], v[80:81], s[98:99], v[136:137] op_sel_hi:[0,1,1]
	v_pk_add_f32 v[172:173], v[132:133], v[172:173] op_sel:[1,0]
	v_add_f32_e32 v6, v6, v170
	v_pk_mul_f32 v[140:141], v[96:97], s[24:25] op_sel:[1,0]
	s_mov_b32 s17, 0x3f2c7751
	v_pk_fma_f32 v[156:157], v[82:83], s[18:19], v[138:139] op_sel_hi:[0,1,1]
	v_pk_add_f32 v[154:155], v[172:173], v[154:155]
	v_sub_f32_e32 v161, v161, v160
	v_add_f32_e32 v6, v6, v159
	v_pk_mul_f32 v[142:143], v[94:95], s[16:17] op_sel:[1,0]
	v_pk_fma_f32 v[158:159], v[84:85], s[28:29], v[140:141] op_sel_hi:[0,1,1]
	v_pk_add_f32 v[154:155], v[154:155], v[156:157]
	v_add_f32_e32 v6, v6, v161
	v_pk_mul_f32 v[144:145], v[92:93], s[62:63] op_sel:[1,0]
	v_pk_fma_f32 v[160:161], v[86:87], s[4:5], v[142:143] op_sel_hi:[0,1,1]
	v_pk_add_f32 v[154:155], v[154:155], v[158:159]
	v_sub_f32_e32 v169, v169, v168
	v_pk_mul_f32 v[146:147], v[90:91], s[6:7] op_sel:[1,0]
	v_pk_fma_f32 v[162:163], v[88:89], s[58:59], v[144:145] op_sel_hi:[0,1,1]
	v_pk_add_f32 v[154:155], v[154:155], v[160:161]
	v_add_f32_e32 v6, v6, v169
	v_pk_mul_f32 v[148:149], v[76:77], s[94:95] op_sel:[1,0]
	v_pk_fma_f32 v[168:169], v[78:79], s[0:1], v[146:147] op_sel_hi:[0,1,1]
	v_pk_add_f32 v[154:155], v[154:155], v[162:163]
	v_pk_fma_f32 v[170:171], v[68:69], s[12:13], v[148:149] op_sel_hi:[0,1,1]
	v_pk_add_f32 v[154:155], v[154:155], v[168:169]
	v_add_u32_e32 v12, 0x48c, v135
	v_pk_add_f32 v[154:155], v[154:155], v[170:171]
	v_pk_mul_f32 v[172:173], v[102:103], s[70:71] op_sel:[1,0]
	ds_write2_b32 v12, v154, v155 offset1:1
	v_pk_mul_f32 v[154:155], v[100:101], s[72:73] op_sel:[1,0]
	v_pk_fma_f32 v[188:189], v[152:153], s[64:65], v[172:173] op_sel:[1,0,0]
	v_pk_mul_f32 v[156:157], v[98:99], s[86:87] op_sel:[1,0]
	v_pk_fma_f32 v[174:175], v[80:81], s[66:67], v[154:155] op_sel_hi:[0,1,1]
	v_pk_add_f32 v[188:189], v[132:133], v[188:189] op_sel:[1,0]
	v_pk_mul_f32 v[158:159], v[96:97], s[88:89] op_sel:[1,0]
	v_pk_fma_f32 v[176:177], v[82:83], s[68:69], v[156:157] op_sel_hi:[0,1,1]
	v_pk_add_f32 v[174:175], v[188:189], v[174:175]
	v_pk_mul_f32 v[160:161], v[94:95], s[90:91] op_sel:[1,0]
	v_pk_fma_f32 v[178:179], v[84:85], s[74:75], v[158:159] op_sel_hi:[0,1,1]
	v_pk_add_f32 v[174:175], v[174:175], v[176:177]
	;; [unrolled: 3-line block ×5, first 2 shown]
	v_pk_fma_f32 v[186:187], v[68:69], s[84:85], v[170:171] op_sel_hi:[0,1,1]
	v_pk_add_f32 v[174:175], v[174:175], v[184:185]
	v_readlane_b32 s16, v206, 16
	v_add_u32_e32 v12, 0x494, v135
	v_pk_add_f32 v[174:175], v[174:175], v[186:187]
	v_readlane_b32 s17, v206, 17
	ds_write2_b32 v12, v174, v175 offset1:1
	v_pk_mul_f32 v[186:187], v[76:77], s[56:57] op_sel:[1,0]
	v_pk_mul_f32 v[174:175], v[100:101], s[16:17] op_sel:[1,0]
	v_readlane_b32 s16, v206, 18
	v_readlane_b32 s17, v206, 19
	v_pk_fma_f32 v[190:191], v[80:81], s[8:9], v[174:175] op_sel_hi:[0,1,1]
	v_pk_fma_f32 v[202:203], v[68:69], s[46:47], v[186:187] op_sel_hi:[0,1,1]
	v_pk_mul_f32 v[176:177], v[98:99], s[16:17] op_sel:[1,0]
	v_readlane_b32 s16, v206, 20
	v_readlane_b32 s17, v206, 21
	v_pk_fma_f32 v[192:193], v[82:83], s[30:31], v[176:177] op_sel_hi:[0,1,1]
	v_mul_f32_e32 v44, 0x3f6eb680, v80
	v_pk_mul_f32 v[178:179], v[96:97], s[16:17] op_sel:[1,0]
	v_readlane_b32 s16, v206, 22
	v_readlane_b32 s17, v206, 23
	v_pk_fma_f32 v[194:195], v[84:85], s[34:35], v[178:179] op_sel_hi:[0,1,1]
	v_mul_f32_e32 v46, 0x3eb8f4ab, v101
	v_pk_mul_f32 v[180:181], v[94:95], s[16:17] op_sel:[1,0]
	v_readlane_b32 s16, v206, 24
	v_readlane_b32 s17, v206, 25
	v_pk_fma_f32 v[196:197], v[86:87], s[36:37], v[180:181] op_sel_hi:[0,1,1]
	v_add_u32_e32 v12, 0x49c, v135
	v_pk_mul_f32 v[182:183], v[92:93], s[16:17] op_sel:[1,0]
	v_readlane_b32 s16, v206, 26
	v_readlane_b32 s17, v206, 27
	v_pk_fma_f32 v[198:199], v[88:89], s[40:41], v[182:183] op_sel_hi:[0,1,1]
	v_mul_f32_e32 v48, 0xbf59a7d5, v82
	v_pk_mul_f32 v[184:185], v[90:91], s[16:17] op_sel:[1,0]
	v_readlane_b32 s16, v206, 14
	v_readlane_b32 s17, v206, 15
	v_pk_fma_f32 v[200:201], v[78:79], s[44:45], v[184:185] op_sel_hi:[0,1,1]
	v_mul_f32_e32 v50, 0xbf06c442, v99
	v_pk_mul_f32 v[188:189], v[102:103], s[16:17] op_sel:[1,0]
	v_mul_f32_e32 v52, 0x3f3d2fb0, v84
	v_pk_fma_f32 v[204:205], v[152:153], s[20:21], v[188:189] op_sel:[1,0,0]
	v_mul_f32_e32 v54, 0x3f2c7751, v97
	v_pk_add_f32 v[204:205], v[132:133], v[204:205] op_sel:[1,0]
	v_mul_f32_e32 v56, 0xbf1a4643, v86
	v_pk_add_f32 v[190:191], v[204:205], v[190:191]
	v_mul_f32_e32 v60, 0xbf4c4adb, v95
	v_pk_add_f32 v[190:191], v[190:191], v[192:193]
	v_pk_add_f32 v[192:193], v[44:45], v[46:47] neg_lo:[0,1] neg_hi:[0,1]
	v_pk_add_f32 v[190:191], v[190:191], v[194:195]
	v_pk_add_f32 v[194:195], v[48:49], v[50:51] neg_lo:[0,1] neg_hi:[0,1]
	;; [unrolled: 2-line block ×3, first 2 shown]
	v_pk_add_f32 v[190:191], v[190:191], v[198:199]
	v_mul_f32_e32 v62, 0x3ee437d1, v88
	v_pk_add_f32 v[190:191], v[190:191], v[200:201]
	v_mul_f32_e32 v64, 0x3f65296c, v93
	v_pk_add_f32 v[190:191], v[190:191], v[202:203]
	ds_write2_b32 v12, v190, v191 offset1:1
	v_pk_add_f32 v[190:191], v[44:45], v[46:47]
	v_pk_add_f32 v[198:199], v[56:57], v[60:61] neg_lo:[0,1] neg_hi:[0,1]
	v_mov_b32_e32 v191, v192
	v_pk_add_f32 v[192:193], v[48:49], v[50:51]
	v_mul_f32_e32 v66, 0xbe8c1d8e, v78
	v_mov_b32_e32 v193, v194
	v_pk_add_f32 v[194:195], v[52:53], v[54:55]
	v_mul_f32_e32 v72, 0xbf763a35, v91
	v_mov_b32_e32 v195, v196
	v_pk_add_f32 v[196:197], v[56:57], v[60:61]
	v_pk_add_f32 v[200:201], v[62:63], v[64:65] neg_lo:[0,1] neg_hi:[0,1]
	v_mov_b32_e32 v197, v198
	v_pk_add_f32 v[198:199], v[62:63], v[64:65]
	v_mul_f32_e32 v164, 0x3dbcf732, v68
	v_mul_f32_e32 v166, 0x3f7ee86f, v77
	v_mov_b32_e32 v199, v200
	v_pk_add_f32 v[200:201], v[66:67], v[72:73]
	v_pk_add_f32 v[202:203], v[66:67], v[72:73] neg_lo:[0,1] neg_hi:[0,1]
	v_mul_f32_e32 v0, 0xbe3c28d5, v103
	v_mul_f32_e32 v30, 0xbf7ba420, v153
	v_mov_b32_e32 v201, v202
	v_pk_add_f32 v[202:203], v[164:165], v[166:167]
	v_pk_add_f32 v[164:165], v[164:165], v[166:167] neg_lo:[0,1] neg_hi:[0,1]
	v_pk_add_f32 v[166:167], v[30:31], v[0:1] neg_lo:[0,1] neg_hi:[0,1]
	v_mov_b32_e32 v203, v164
	v_pk_add_f32 v[164:165], v[30:31], v[0:1]
	v_add_u32_e32 v12, 0x4a4, v135
	v_mov_b32_e32 v165, v166
	v_pk_add_f32 v[164:165], v[132:133], v[164:165] op_sel:[1,0]
	v_pk_fma_f32 v[166:167], v[82:83], s[30:31], v[176:177] op_sel_hi:[0,1,1] neg_lo:[0,0,1] neg_hi:[0,0,1]
	v_pk_add_f32 v[164:165], v[164:165], v[190:191]
	v_pk_fma_f32 v[176:177], v[86:87], s[36:37], v[180:181] op_sel_hi:[0,1,1] neg_lo:[0,0,1] neg_hi:[0,0,1]
	v_pk_add_f32 v[164:165], v[164:165], v[192:193]
	v_pk_fma_f32 v[180:181], v[78:79], s[44:45], v[184:185] op_sel_hi:[0,1,1] neg_lo:[0,0,1] neg_hi:[0,0,1]
	v_pk_add_f32 v[164:165], v[164:165], v[194:195]
	v_pk_fma_f32 v[184:185], v[152:153], s[20:21], v[188:189] op_sel:[1,0,0] neg_lo:[0,0,1] neg_hi:[0,0,1]
	v_pk_add_f32 v[164:165], v[164:165], v[196:197]
	v_pk_add_f32 v[184:185], v[132:133], v[184:185] op_sel:[1,0]
	v_pk_add_f32 v[164:165], v[164:165], v[198:199]
	v_pk_fma_f32 v[154:155], v[80:81], s[66:67], v[154:155] op_sel_hi:[0,1,1] neg_lo:[0,0,1] neg_hi:[0,0,1]
	v_pk_add_f32 v[164:165], v[164:165], v[200:201]
	v_pk_fma_f32 v[150:151], v[152:153], s[96:97], v[150:151] op_sel:[1,0,0] neg_lo:[0,0,1] neg_hi:[0,0,1]
	v_pk_add_f32 v[164:165], v[164:165], v[202:203]
	ds_write2_b32 v12, v164, v165 offset1:1
	v_pk_fma_f32 v[164:165], v[80:81], s[8:9], v[174:175] op_sel_hi:[0,1,1] neg_lo:[0,0,1] neg_hi:[0,0,1]
	v_pk_add_f32 v[164:165], v[184:185], v[164:165]
	v_pk_fma_f32 v[174:175], v[84:85], s[34:35], v[178:179] op_sel_hi:[0,1,1] neg_lo:[0,0,1] neg_hi:[0,0,1]
	v_pk_add_f32 v[164:165], v[164:165], v[166:167]
	;; [unrolled: 2-line block ×4, first 2 shown]
	v_add_u32_e32 v12, 0x4ac, v135
	v_pk_add_f32 v[164:165], v[164:165], v[178:179]
	v_pk_fma_f32 v[156:157], v[82:83], s[68:69], v[156:157] op_sel_hi:[0,1,1] neg_lo:[0,0,1] neg_hi:[0,0,1]
	v_pk_add_f32 v[164:165], v[164:165], v[180:181]
	v_pk_fma_f32 v[136:137], v[80:81], s[98:99], v[136:137] op_sel_hi:[0,1,1] neg_lo:[0,0,1] neg_hi:[0,0,1]
	v_pk_add_f32 v[164:165], v[164:165], v[182:183]
	ds_write2_b32 v12, v165, v164 offset1:1
	v_pk_fma_f32 v[164:165], v[78:79], s[80:81], v[168:169] op_sel_hi:[0,1,1] neg_lo:[0,0,1] neg_hi:[0,0,1]
	v_pk_fma_f32 v[168:169], v[152:153], s[64:65], v[172:173] op_sel:[1,0,0] neg_lo:[0,0,1] neg_hi:[0,0,1]
	v_pk_fma_f32 v[158:159], v[84:85], s[74:75], v[158:159] op_sel_hi:[0,1,1] neg_lo:[0,0,1] neg_hi:[0,0,1]
	v_pk_add_f32 v[168:169], v[132:133], v[168:169] op_sel:[1,0]
	v_pk_add_f32 v[132:133], v[132:133], v[150:151] op_sel:[1,0]
	v_pk_add_f32 v[154:155], v[168:169], v[154:155]
	v_pk_fma_f32 v[138:139], v[82:83], s[18:19], v[138:139] op_sel_hi:[0,1,1] neg_lo:[0,0,1] neg_hi:[0,0,1]
	v_pk_add_f32 v[154:155], v[154:155], v[156:157]
	v_pk_add_f32 v[132:133], v[132:133], v[136:137]
	v_pk_fma_f32 v[160:161], v[86:87], s[78:79], v[160:161] op_sel_hi:[0,1,1] neg_lo:[0,0,1] neg_hi:[0,0,1]
	v_pk_add_f32 v[154:155], v[154:155], v[158:159]
	v_pk_fma_f32 v[140:141], v[84:85], s[28:29], v[140:141] op_sel_hi:[0,1,1] neg_lo:[0,0,1] neg_hi:[0,0,1]
	;; [unrolled: 2-line block ×4, first 2 shown]
	v_pk_add_f32 v[132:133], v[132:133], v[140:141]
	v_pk_add_f32 v[154:155], v[154:155], v[162:163]
	v_pk_fma_f32 v[144:145], v[88:89], s[58:59], v[144:145] op_sel_hi:[0,1,1] neg_lo:[0,0,1] neg_hi:[0,0,1]
	v_pk_add_f32 v[132:133], v[132:133], v[142:143]
	v_pk_fma_f32 v[166:167], v[68:69], s[84:85], v[170:171] op_sel_hi:[0,1,1] neg_lo:[0,0,1] neg_hi:[0,0,1]
	;; [unrolled: 2-line block ×3, first 2 shown]
	v_pk_add_f32 v[132:133], v[132:133], v[144:145]
	v_add_u32_e32 v12, 0x4b4, v135
	v_pk_add_f32 v[154:155], v[154:155], v[166:167]
	v_pk_fma_f32 v[148:149], v[68:69], s[12:13], v[148:149] op_sel_hi:[0,1,1] neg_lo:[0,0,1] neg_hi:[0,0,1]
	v_pk_add_f32 v[132:133], v[132:133], v[146:147]
	ds_write2_b32 v12, v155, v154 offset1:1
	v_add_u32_e32 v12, 0x4bc, v135
	v_pk_add_f32 v[132:133], v[132:133], v[148:149]
	ds_write2_b32 v12, v133, v132 offset1:1
	ds_write_b32 v135, v6 offset:1220
	v_mov_b32_e32 v0, v133
.LBB0_16:
	s_or_b64 exec, exec, s[52:53]
	s_mov_b32 s16, s49
	s_mov_b32 s17, s48
	v_mov_b32_e32 v132, v105
	v_mov_b32_e32 v133, v110
	v_pk_mul_f32 v[136:137], v[132:133], s[16:17]
	v_add_f32_e32 v6, v11, v41
	v_mov_b32_e32 v139, v136
	v_pk_fma_f32 v[132:133], v[132:133], s[16:17], v[138:139] neg_lo:[1,0,0] neg_hi:[1,0,0]
	s_mov_b32 s16, s23
	s_mov_b32 s17, s22
	v_mov_b32_e32 v138, v107
	v_mov_b32_e32 v139, v114
	v_pk_mul_f32 v[140:141], v[138:139], s[16:17]
	v_add_f32_e32 v14, v6, v45
	v_mov_b32_e32 v143, v140
	v_pk_fma_f32 v[138:139], v[138:139], s[16:17], v[142:143] neg_lo:[1,0,0] neg_hi:[1,0,0]
	s_mov_b32 s16, s15
	s_mov_b32 s17, s14
	v_mov_b32_e32 v142, v109
	v_mov_b32_e32 v143, v118
	v_pk_mul_f32 v[144:145], v[142:143], s[16:17]
	s_mov_b32 s14, s3
	v_mov_b32_e32 v147, v144
	v_pk_fma_f32 v[142:143], v[142:143], s[16:17], v[146:147] neg_lo:[1,0,0] neg_hi:[1,0,0]
	s_mov_b32 s15, s2
	v_mov_b32_e32 v146, v113
	v_mov_b32_e32 v147, v122
	v_pk_mul_f32 v[148:149], v[146:147], s[14:15]
	v_pk_add_f32 v[74:75], v[70:71], v[74:75] neg_lo:[0,1] neg_hi:[0,1]
	v_mov_b32_e32 v151, v148
	v_add_f32_e32 v18, v14, v43
	v_pk_fma_f32 v[146:147], v[146:147], s[14:15], v[150:151] neg_lo:[1,0,0] neg_hi:[1,0,0]
	s_mov_b32 s2, s39
	s_mov_b32 s3, s38
	v_mov_b32_e32 v150, v116
	v_mov_b32_e32 v151, v75
	;; [unrolled: 1-line block ×3, first 2 shown]
	v_add_f32_e32 v22, v18, v51
	v_pk_mul_f32 v[152:153], v[150:151], s[2:3]
	v_pk_add_f32 v[72:73], v[0:1], v[58:59] neg_lo:[0,1] neg_hi:[0,1]
	v_add_f32_e32 v58, v22, v49
	v_mov_b32_e32 v71, v152
	v_pk_add_f32 v[40:41], v[58:59], v[40:41]
	v_pk_fma_f32 v[150:151], v[150:151], s[2:3], v[70:71] neg_lo:[1,0,0] neg_hi:[1,0,0]
	s_mov_b32 s2, s61
	s_mov_b32 s3, s60
	v_mov_b32_e32 v154, v121
	v_mov_b32_e32 v155, v128
	v_mul_f32_e32 v30, 0x3f6eb680, v41
	v_pk_mul_f32 v[156:157], v[154:155], s[2:3]
	v_mov_b32_e32 v130, v47
	v_fmac_f32_e32 v30, 0xbeb8f4ab, v72
	v_mov_b32_e32 v71, v156
	v_mul_f32_e32 v171, 0xbeb8f4ab, v72
	v_add_f32_e32 v48, v136, v137
	v_pk_add_f32 v[44:45], v[40:41], v[130:131]
	v_add_f32_e32 v52, v30, v11
	v_mov_b32_e32 v170, v53
	v_pk_fma_f32 v[154:155], v[154:155], s[2:3], v[70:71] neg_lo:[1,0,0] neg_hi:[1,0,0]
	s_mov_b32 s2, s11
	s_mov_b32 s3, s10
	v_mov_b32_e32 v158, v127
	v_mov_b32_e32 v159, v124
	v_add_f32_e32 v48, v52, v48
	v_pk_add_f32 v[44:45], v[44:45], v[170:171]
	v_pk_fma_f32 v[52:53], v[40:41], v[130:131], v[170:171] neg_lo:[0,0,1] neg_hi:[0,0,1]
	v_pk_mul_f32 v[160:161], v[158:159], s[2:3]
	v_mov_b32_e32 v46, v57
	v_mov_b32_e32 v47, v11
	;; [unrolled: 1-line block ×5, first 2 shown]
	v_pk_add_f32 v[44:45], v[44:45], v[46:47]
	v_pk_fma_f32 v[158:159], v[158:159], s[2:3], v[70:71] neg_lo:[1,0,0] neg_hi:[1,0,0]
	v_mov_b32_e32 v71, v139
	v_pk_add_f32 v[44:45], v[132:133], v[44:45]
	v_add_f32_e32 v43, v140, v141
	v_mov_b32_e32 v142, v67
	v_pk_add_f32 v[44:45], v[70:71], v[44:45]
	v_add_f32_e32 v50, v144, v145
	v_mov_b32_e32 v146, v65
	v_add_f32_e32 v43, v48, v43
	v_pk_add_f32 v[44:45], v[142:143], v[44:45]
	v_add_f32_e32 v49, v148, v149
	v_mov_b32_e32 v150, v63
	v_add_f32_e32 v43, v43, v50
	;; [unrolled: 4-line block ×3, first 2 shown]
	v_pk_add_f32 v[44:45], v[150:151], v[44:45]
	v_pk_mul_f32 v[162:163], v[72:73], s[50:51] op_sel_hi:[0,1]
	v_add_f32_e32 v43, v43, v51
	v_add_f32_e32 v48, v156, v157
	v_pk_add_f32 v[44:45], v[154:155], v[44:45]
	v_mov_b32_e32 v158, v59
	v_pk_mul_f32 v[164:165], v[110:111], s[42:43] op_sel_hi:[0,1]
	v_add_f32_e32 v43, v43, v48
	v_pk_add_f32 v[62:63], v[158:159], v[44:45]
	v_add_f32_e32 v44, v160, v161
	v_pk_fma_f32 v[64:65], v[40:41], s[96:97], v[162:163] op_sel:[1,0,0] neg_lo:[0,0,1] neg_hi:[0,0,1]
	v_pk_mul_f32 v[166:167], v[114:115], s[26:27] op_sel_hi:[0,1]
	v_add_f32_e32 v140, v43, v44
	v_pk_fma_f32 v[44:45], v[104:105], s[98:99], v[164:165] op_sel:[1,0,0] neg_lo:[0,0,1] neg_hi:[0,0,1]
	s_mov_b32 s2, 0x3f06c442
	v_pk_add_f32 v[64:65], v[64:65], v[10:11] op_sel:[0,1]
	v_pk_mul_f32 v[168:169], v[118:119], s[24:25] op_sel_hi:[0,1]
	v_pk_fma_f32 v[46:47], v[106:107], s[18:19], v[166:167] op_sel:[1,0,0] neg_lo:[0,0,1] neg_hi:[0,0,1]
	s_mov_b32 s3, 0x3f2c7751
	v_pk_add_f32 v[44:45], v[64:65], v[44:45]
	v_pk_fma_f32 v[52:53], v[108:109], s[28:29], v[168:169] op_sel:[1,0,0] neg_lo:[0,0,1] neg_hi:[0,0,1]
	v_pk_mul_f32 v[54:55], v[122:123], s[2:3] op_sel_hi:[0,1]
	v_pk_add_f32 v[44:45], v[44:45], v[46:47]
	v_pk_fma_f32 v[56:57], v[112:113], s[4:5], v[54:55] op_sel:[1,0,0] neg_lo:[0,0,1] neg_hi:[0,0,1]
	v_pk_mul_f32 v[58:59], v[74:75], s[62:63] op_sel:[1,0]
	v_pk_add_f32 v[44:45], v[44:45], v[52:53]
	v_pk_fma_f32 v[60:61], v[116:117], s[58:59], v[58:59] op_sel_hi:[0,1,1] neg_lo:[0,0,1] neg_hi:[0,0,1]
	v_pk_add_f32 v[44:45], v[44:45], v[56:57]
	v_pk_mul_f32 v[46:47], v[128:129], s[6:7] op_sel_hi:[0,1]
	v_pk_add_f32 v[44:45], v[44:45], v[60:61]
	v_pk_fma_f32 v[52:53], v[120:121], s[0:1], v[46:47] op_sel:[1,0,0] neg_lo:[0,0,1] neg_hi:[0,0,1]
	v_pk_fma_f32 v[64:65], v[40:41], s[96:97], v[162:163] op_sel:[1,0,0]
	v_pk_add_f32 v[44:45], v[44:45], v[52:53]
	v_pk_mul_f32 v[52:53], v[124:125], s[94:95] op_sel_hi:[0,1]
	v_pk_fma_f32 v[56:57], v[126:127], s[12:13], v[52:53] op_sel:[1,0,0] neg_lo:[0,0,1] neg_hi:[0,0,1]
	v_pk_add_f32 v[64:65], v[64:65], v[10:11] op_sel:[0,1]
	v_pk_add_f32 v[130:131], v[44:45], v[56:57]
	v_pk_fma_f32 v[44:45], v[104:105], s[98:99], v[164:165] op_sel:[1,0,0]
	v_pk_fma_f32 v[56:57], v[106:107], s[18:19], v[166:167] op_sel:[1,0,0]
	v_pk_add_f32 v[44:45], v[64:65], v[44:45]
	v_pk_fma_f32 v[60:61], v[108:109], s[28:29], v[168:169] op_sel:[1,0,0]
	v_pk_add_f32 v[44:45], v[44:45], v[56:57]
	;; [unrolled: 2-line block ×3, first 2 shown]
	v_pk_fma_f32 v[58:59], v[116:117], s[58:59], v[58:59] op_sel_hi:[0,1,1]
	v_pk_add_f32 v[44:45], v[44:45], v[54:55]
	v_pk_fma_f32 v[46:47], v[120:121], s[0:1], v[46:47] op_sel:[1,0,0]
	v_pk_add_f32 v[44:45], v[44:45], v[58:59]
	v_pk_mul_f32 v[54:55], v[114:115], s[86:87] op_sel_hi:[0,1]
	v_pk_add_f32 v[44:45], v[44:45], v[46:47]
	v_pk_fma_f32 v[46:47], v[126:127], s[12:13], v[52:53] op_sel:[1,0,0]
	v_pk_fma_f32 v[56:57], v[106:107], s[68:69], v[54:55] op_sel:[1,0,0] neg_lo:[0,0,1] neg_hi:[0,0,1]
	v_pk_add_f32 v[132:133], v[44:45], v[46:47]
	v_pk_mul_f32 v[44:45], v[72:73], s[70:71] op_sel_hi:[0,1]
	v_pk_mul_f32 v[46:47], v[110:111], s[72:73] op_sel_hi:[0,1]
	v_pk_fma_f32 v[138:139], v[40:41], s[64:65], v[44:45] op_sel:[1,0,0] neg_lo:[0,0,1] neg_hi:[0,0,1]
	v_pk_fma_f32 v[52:53], v[104:105], s[66:67], v[46:47] op_sel:[1,0,0] neg_lo:[0,0,1] neg_hi:[0,0,1]
	v_pk_add_f32 v[138:139], v[138:139], v[10:11] op_sel:[0,1]
	v_pk_mul_f32 v[58:59], v[118:119], s[88:89] op_sel_hi:[0,1]
	v_pk_add_f32 v[52:53], v[138:139], v[52:53]
	v_pk_fma_f32 v[60:61], v[108:109], s[74:75], v[58:59] op_sel:[1,0,0] neg_lo:[0,0,1] neg_hi:[0,0,1]
	v_pk_mul_f32 v[64:65], v[122:123], s[90:91] op_sel_hi:[0,1]
	v_pk_add_f32 v[52:53], v[52:53], v[56:57]
	v_pk_fma_f32 v[66:67], v[112:113], s[78:79], v[64:65] op_sel:[1,0,0] neg_lo:[0,0,1] neg_hi:[0,0,1]
	v_pk_mul_f32 v[70:71], v[74:75], s[76:77] op_sel:[1,0]
	v_pk_add_f32 v[52:53], v[52:53], v[60:61]
	v_pk_fma_f32 v[136:137], v[116:117], s[82:83], v[70:71] op_sel_hi:[0,1,1] neg_lo:[0,0,1] neg_hi:[0,0,1]
	v_pk_add_f32 v[52:53], v[52:53], v[66:67]
	v_pk_mul_f32 v[56:57], v[128:129], s[54:55] op_sel_hi:[0,1]
	v_pk_add_f32 v[52:53], v[52:53], v[136:137]
	v_pk_fma_f32 v[60:61], v[120:121], s[80:81], v[56:57] op_sel:[1,0,0] neg_lo:[0,0,1] neg_hi:[0,0,1]
	v_pk_fma_f32 v[44:45], v[40:41], s[64:65], v[44:45] op_sel:[1,0,0]
	v_pk_add_f32 v[52:53], v[52:53], v[60:61]
	v_pk_mul_f32 v[60:61], v[124:125], s[92:93] op_sel_hi:[0,1]
	v_pk_fma_f32 v[66:67], v[126:127], s[84:85], v[60:61] op_sel:[1,0,0] neg_lo:[0,0,1] neg_hi:[0,0,1]
	v_pk_fma_f32 v[46:47], v[104:105], s[66:67], v[46:47] op_sel:[1,0,0]
	v_pk_add_f32 v[44:45], v[44:45], v[10:11] op_sel:[0,1]
	v_pk_add_f32 v[136:137], v[52:53], v[66:67]
	v_pk_fma_f32 v[52:53], v[106:107], s[68:69], v[54:55] op_sel:[1,0,0]
	v_pk_add_f32 v[44:45], v[44:45], v[46:47]
	v_pk_fma_f32 v[54:55], v[108:109], s[74:75], v[58:59] op_sel:[1,0,0]
	;; [unrolled: 2-line block ×3, first 2 shown]
	v_pk_add_f32 v[44:45], v[44:45], v[54:55]
	v_pk_fma_f32 v[64:65], v[116:117], s[82:83], v[70:71] op_sel_hi:[0,1,1]
	v_pk_add_f32 v[44:45], v[44:45], v[58:59]
	v_pk_fma_f32 v[46:47], v[120:121], s[80:81], v[56:57] op_sel:[1,0,0]
	v_pk_add_f32 v[44:45], v[44:45], v[64:65]
	v_readlane_b32 s0, v206, 14
	v_pk_add_f32 v[44:45], v[44:45], v[46:47]
	v_pk_fma_f32 v[46:47], v[126:127], s[84:85], v[60:61] op_sel:[1,0,0]
	v_readlane_b32 s1, v206, 15
	v_pk_add_f32 v[138:139], v[44:45], v[46:47]
	v_mul_f32_e32 v28, 0x3f65296c, v75
	v_pk_mul_f32 v[44:45], v[72:73], s[0:1] op_sel_hi:[0,1]
	v_readlane_b32 s0, v206, 16
	v_readlane_b32 s1, v206, 17
	v_mul_f32_e32 v0, 0xbe3c28d5, v72
	v_mul_f32_e32 v30, 0xbf7ba420, v41
	v_pk_mul_f32 v[46:47], v[110:111], s[0:1] op_sel_hi:[0,1]
	v_readlane_b32 s0, v206, 18
	v_readlane_b32 s1, v206, 19
	v_pk_fma_f32 v[52:53], v[104:105], s[8:9], v[46:47] op_sel:[1,0,0] neg_lo:[0,0,1] neg_hi:[0,0,1]
	v_pk_fma_f32 v[46:47], v[104:105], s[8:9], v[46:47] op_sel:[1,0,0]
	v_pk_mul_f32 v[54:55], v[114:115], s[0:1] op_sel_hi:[0,1]
	v_readlane_b32 s0, v206, 20
	v_readlane_b32 s1, v206, 21
	v_pk_fma_f32 v[56:57], v[106:107], s[30:31], v[54:55] op_sel:[1,0,0] neg_lo:[0,0,1] neg_hi:[0,0,1]
	v_mul_f32_e32 v6, 0x3f6eb680, v105
	v_pk_mul_f32 v[58:59], v[118:119], s[0:1] op_sel_hi:[0,1]
	v_readlane_b32 s0, v206, 22
	v_readlane_b32 s1, v206, 23
	v_pk_fma_f32 v[60:61], v[108:109], s[34:35], v[58:59] op_sel:[1,0,0] neg_lo:[0,0,1] neg_hi:[0,0,1]
	v_mul_f32_e32 v12, 0x3eb8f4ab, v110
	;; [unrolled: 5-line block ×3, first 2 shown]
	v_pk_mul_f32 v[70:71], v[74:75], s[0:1] op_sel:[1,0]
	v_pk_fma_f32 v[74:75], v[40:41], s[20:21], v[44:45] op_sel:[1,0,0] neg_lo:[0,0,1] neg_hi:[0,0,1]
	v_readlane_b32 s0, v206, 26
	v_pk_add_f32 v[74:75], v[74:75], v[10:11] op_sel:[0,1]
	v_readlane_b32 s1, v206, 27
	v_pk_add_f32 v[52:53], v[74:75], v[52:53]
	v_pk_fma_f32 v[72:73], v[116:117], s[40:41], v[70:71] op_sel_hi:[0,1,1] neg_lo:[0,0,1] neg_hi:[0,0,1]
	v_pk_add_f32 v[52:53], v[52:53], v[56:57]
	v_pk_mul_f32 v[56:57], v[128:129], s[0:1] op_sel_hi:[0,1]
	v_pk_add_f32 v[52:53], v[52:53], v[60:61]
	v_pk_fma_f32 v[60:61], v[120:121], s[44:45], v[56:57] op_sel:[1,0,0] neg_lo:[0,0,1] neg_hi:[0,0,1]
	v_pk_add_f32 v[52:53], v[52:53], v[66:67]
	v_pk_fma_f32 v[40:41], v[40:41], s[20:21], v[44:45] op_sel:[1,0,0]
	v_pk_add_f32 v[52:53], v[52:53], v[72:73]
	v_pk_add_f32 v[40:41], v[40:41], v[10:11] op_sel:[0,1]
	v_pk_add_f32 v[52:53], v[52:53], v[60:61]
	v_pk_mul_f32 v[60:61], v[124:125], s[56:57] op_sel_hi:[0,1]
	v_pk_fma_f32 v[66:67], v[126:127], s[46:47], v[60:61] op_sel:[1,0,0] neg_lo:[0,0,1] neg_hi:[0,0,1]
	v_pk_add_f32 v[40:41], v[40:41], v[46:47]
	v_pk_add_f32 v[74:75], v[52:53], v[66:67]
	v_pk_fma_f32 v[52:53], v[106:107], s[30:31], v[54:55] op_sel:[1,0,0]
	v_mul_f32_e32 v16, 0xbf06c442, v114
	v_pk_fma_f32 v[54:55], v[108:109], s[34:35], v[58:59] op_sel:[1,0,0]
	v_pk_add_f32 v[40:41], v[40:41], v[52:53]
	v_pk_add_f32 v[46:47], v[6:7], v[12:13] neg_lo:[0,1] neg_hi:[0,1]
	v_pk_add_f32 v[52:53], v[6:7], v[12:13]
	v_mul_f32_e32 v18, 0x3f3d2fb0, v109
	v_mul_f32_e32 v20, 0x3f2c7751, v118
	v_pk_fma_f32 v[58:59], v[112:113], s[36:37], v[64:65] op_sel:[1,0,0]
	v_pk_add_f32 v[40:41], v[40:41], v[54:55]
	v_mov_b32_e32 v47, v52
	v_pk_add_f32 v[52:53], v[14:15], v[16:17] neg_lo:[0,1] neg_hi:[0,1]
	v_pk_add_f32 v[54:55], v[14:15], v[16:17]
	v_mul_f32_e32 v22, 0xbf1a4643, v113
	v_mul_f32_e32 v24, 0xbf4c4adb, v122
	v_pk_fma_f32 v[64:65], v[116:117], s[40:41], v[70:71] op_sel_hi:[0,1,1]
	v_pk_add_f32 v[40:41], v[40:41], v[58:59]
	v_pk_fma_f32 v[44:45], v[120:121], s[44:45], v[56:57] op_sel:[1,0,0]
	v_mov_b32_e32 v53, v54
	v_pk_add_f32 v[54:55], v[18:19], v[20:21] neg_lo:[0,1] neg_hi:[0,1]
	v_pk_add_f32 v[56:57], v[18:19], v[20:21]
	v_mul_f32_e32 v26, 0x3ee437d1, v116
	v_pk_add_f32 v[40:41], v[40:41], v[64:65]
	v_mov_b32_e32 v55, v56
	v_pk_add_f32 v[56:57], v[22:23], v[24:25] neg_lo:[0,1] neg_hi:[0,1]
	v_pk_add_f32 v[58:59], v[22:23], v[24:25]
	v_pk_add_f32 v[40:41], v[40:41], v[44:45]
	v_pk_fma_f32 v[44:45], v[126:127], s[46:47], v[60:61] op_sel:[1,0,0]
	v_mov_b32_e32 v57, v58
	v_pk_add_f32 v[58:59], v[26:27], v[28:29] neg_lo:[0,1] neg_hi:[0,1]
	v_pk_add_f32 v[60:61], v[26:27], v[28:29]
	v_pk_add_f32 v[64:65], v[30:31], v[0:1]
	v_mov_b32_e32 v59, v60
	v_pk_add_f32 v[60:61], v[30:31], v[0:1] neg_lo:[0,1] neg_hi:[0,1]
	v_mul_f32_e32 v48, 0xbe8c1d8e, v121
	v_mov_b32_e32 v61, v64
	v_pk_add_f32 v[10:11], v[60:61], v[10:11] op_sel:[0,1]
	v_mul_f32_e32 v50, 0xbf763a35, v128
	v_pk_add_f32 v[10:11], v[10:11], v[46:47]
	v_pk_add_f32 v[46:47], v[48:49], v[50:51] neg_lo:[0,1] neg_hi:[0,1]
	v_pk_add_f32 v[10:11], v[10:11], v[52:53]
	v_pk_add_f32 v[48:49], v[48:49], v[50:51]
	;; [unrolled: 1-line block ×5, first 2 shown]
	v_mul_f32_e32 v40, 0x3dbcf732, v127
	v_mul_f32_e32 v44, 0x3f7ee86f, v124
	v_pk_add_f32 v[10:11], v[10:11], v[58:59]
	v_mov_b32_e32 v47, v48
	v_lshlrev_b32_e32 v71, 2, v42
	v_lshlrev_b32_e32 v0, 2, v134
	v_pk_add_f32 v[10:11], v[10:11], v[46:47]
	v_pk_add_f32 v[46:47], v[40:41], v[44:45] neg_lo:[0,1] neg_hi:[0,1]
	v_pk_add_f32 v[40:41], v[40:41], v[44:45]
	v_add3_u32 v66, 0, v0, v71
	v_mov_b32_e32 v47, v40
	v_add3_u32 v65, 0, v71, v0
	v_add_u32_e32 v70, 0x200, v66
	v_add_u32_e32 v67, 0x400, v66
	v_pk_add_f32 v[106:107], v[10:11], v[46:47]
	s_waitcnt lgkmcnt(0)
	; wave barrier
	s_waitcnt lgkmcnt(0)
	ds_read_b32 v72, v65
	ds_read2_b32 v[60:61], v66 offset0:85 offset1:102
	ds_read2_b32 v[46:47], v66 offset0:153 offset1:170
	;; [unrolled: 1-line block ×12, first 2 shown]
	v_add_u32_e32 v64, 17, v134
	s_waitcnt lgkmcnt(0)
	; wave barrier
	s_waitcnt lgkmcnt(0)
	ds_write2_b32 v135, v62, v63 offset1:1
	ds_write2_b32 v135, v130, v131 offset0:2 offset1:3
	ds_write2_b32 v135, v136, v137 offset0:4 offset1:5
	;; [unrolled: 1-line block ×6, first 2 shown]
	v_mov_b32_e32 v6, v133
	ds_write2_b32 v135, v133, v132 offset0:14 offset1:15
	ds_write_b32 v135, v140 offset:64
	s_and_saveexec_b64 s[0:1], vcc
	s_cbranch_execz .LBB0_18
; %bb.17:
	v_mov_b32_e32 v6, v1
	v_pk_add_f32 v[62:63], v[6:7], v[8:9]
	s_mov_b32 s6, 0x3f3d2fb0
	v_pk_add_f32 v[38:39], v[62:63], v[38:39]
	s_mov_b32 s7, 0xbf2c7751
	;; [unrolled: 2-line block ×4, first 2 shown]
	v_pk_add_f32 v[32:33], v[34:35], v[32:33]
	v_mov_b32_e32 v34, v81
	v_mov_b32_e32 v35, v100
	v_pk_mul_f32 v[38:39], v[34:35], s[6:7]
	s_mov_b32 s11, 0xbf7ee86f
	v_mov_b32_e32 v1, v38
	v_pk_fma_f32 v[74:75], v[34:35], s[6:7], v[0:1] neg_lo:[1,0,0] neg_hi:[1,0,0]
	v_mov_b32_e32 v34, v83
	v_mov_b32_e32 v35, v98
	v_add_f32_e32 v73, v38, v39
	v_pk_mul_f32 v[38:39], v[34:35], s[2:3]
	s_mov_b32 s10, 0x3dbcf732
	v_mov_b32_e32 v1, v38
	v_pk_fma_f32 v[104:105], v[34:35], s[2:3], v[0:1] neg_lo:[1,0,0] neg_hi:[1,0,0]
	v_mov_b32_e32 v34, v85
	v_mov_b32_e32 v35, v96
	v_add_f32_e32 v118, v38, v39
	v_pk_mul_f32 v[38:39], v[34:35], s[10:11]
	s_mov_b32 s18, 0xbe8c1d8e
	v_mov_b32_e32 v1, v38
	v_pk_fma_f32 v[106:107], v[34:35], s[10:11], v[0:1] neg_lo:[1,0,0] neg_hi:[1,0,0]
	v_mov_b32_e32 v34, v87
	v_mov_b32_e32 v35, v94
	s_mov_b32 s19, 0xbf763a35
	v_add_f32_e32 v119, v38, v39
	v_pk_mul_f32 v[38:39], v[34:35], s[18:19]
	s_mov_b32 s20, 0xbf1a4643
	v_mov_b32_e32 v1, v38
	v_pk_fma_f32 v[108:109], v[34:35], s[18:19], v[0:1] neg_lo:[1,0,0] neg_hi:[1,0,0]
	s_mov_b32 s21, 0xbf4c4adb
	v_mov_b32_e32 v34, v89
	v_mov_b32_e32 v35, v92
	v_add_f32_e32 v120, v38, v39
	v_pk_mul_f32 v[38:39], v[34:35], s[20:21]
	s_mov_b32 s14, 0xbf59a7d5
	v_mov_b32_e32 v1, v38
	v_mov_b32_e32 v8, v33
	;; [unrolled: 1-line block ×3, first 2 shown]
	s_mov_b32 s15, 0xbf06c442
	v_pk_fma_f32 v[110:111], v[34:35], s[20:21], v[0:1] neg_lo:[1,0,0] neg_hi:[1,0,0]
	v_add_f32_e32 v35, v38, v39
	v_mov_b32_e32 v38, v79
	v_mov_b32_e32 v39, v90
	v_pk_add_f32 v[62:63], v[8:9], v[18:19]
	v_mov_b32_e32 v9, 0x3f6eb680
	v_mov_b32_e32 v8, v29
	v_pk_mul_f32 v[112:113], v[38:39], s[14:15]
	v_pk_mul_f32 v[116:117], v[62:63], v[8:9]
	v_mul_f32_e32 v37, 0xbeb8f4ab, v102
	v_mov_b32_e32 v1, v112
	v_pk_add_f32 v[114:115], v[62:63], v[8:9]
	v_mov_b32_e32 v36, v17
	v_fmac_f32_e32 v117, 0xbeb8f4ab, v102
	v_pk_fma_f32 v[38:39], v[38:39], s[14:15], v[0:1] neg_lo:[1,0,0] neg_hi:[1,0,0]
	v_pk_add_f32 v[114:115], v[114:115], v[36:37]
	v_pk_fma_f32 v[8:9], v[62:63], v[8:9], v[36:37] neg_lo:[0,0,1] neg_hi:[0,0,1]
	v_add_f32_e32 v1, v7, v117
	v_mov_b32_e32 v115, v9
	v_add_f32_e32 v1, v1, v73
	v_pk_add_f32 v[8:9], v[114:115], v[6:7]
	v_mov_b32_e32 v74, v15
	v_add_f32_e32 v1, v1, v118
	s_mov_b32 s4, 0xbf7ba420
	v_pk_add_f32 v[8:9], v[74:75], v[8:9]
	v_mov_b32_e32 v104, v13
	v_add_f32_e32 v1, v1, v119
	s_mov_b32 s5, 0xbe3c28d5
	v_pk_add_f32 v[8:9], v[104:105], v[8:9]
	v_mov_b32_e32 v106, v27
	v_add_f32_e32 v1, v1, v120
	v_mov_b32_e32 v74, v69
	v_mov_b32_e32 v75, v76
	v_pk_add_f32 v[8:9], v[106:107], v[8:9]
	v_mov_b32_e32 v108, v25
	v_add_f32_e32 v1, v1, v35
	v_add_f32_e32 v13, v112, v113
	v_pk_mul_f32 v[104:105], v[74:75], s[4:5]
	v_pk_add_f32 v[8:9], v[108:109], v[8:9]
	v_mov_b32_e32 v110, v23
	v_add_f32_e32 v13, v1, v13
	v_mov_b32_e32 v1, v104
	v_pk_add_f32 v[8:9], v[110:111], v[8:9]
	v_mov_b32_e32 v38, v21
	v_pk_fma_f32 v[74:75], v[74:75], s[4:5], v[0:1] neg_lo:[1,0,0] neg_hi:[1,0,0]
	v_pk_add_f32 v[8:9], v[38:39], v[8:9]
	v_mov_b32_e32 v74, v19
	s_mov_b32 s16, s7
	s_mov_b32 s17, s3
	v_pk_add_f32 v[8:9], v[74:75], v[8:9]
	v_pk_mul_f32 v[74:75], v[102:103], s[16:17] op_sel_hi:[0,1]
	s_mov_b32 s28, s11
	s_mov_b32 s29, s21
	;; [unrolled: 1-line block ×4, first 2 shown]
	v_add_f32_e32 v1, v104, v105
	s_mov_b32 s16, s10
	s_mov_b32 s17, s20
	v_pk_mul_f32 v[104:105], v[100:101], s[28:29] op_sel_hi:[0,1]
	s_mov_b32 s29, 0x3e3c28d5
	s_mov_b32 s28, s21
	v_pk_fma_f32 v[124:125], v[62:63], s[38:39], v[74:75] op_sel:[1,0,0] neg_lo:[0,0,1] neg_hi:[0,0,1]
	v_pk_fma_f32 v[106:107], v[80:81], s[16:17], v[104:105] op_sel:[1,0,0] neg_lo:[0,0,1] neg_hi:[0,0,1]
	s_mov_b32 s30, s20
	s_mov_b32 s31, s4
	v_pk_mul_f32 v[108:109], v[98:99], s[28:29] op_sel_hi:[0,1]
	s_mov_b32 s29, 0x3f763a35
	s_mov_b32 s28, s5
	v_pk_add_f32 v[124:125], v[6:7], v[124:125] op_sel:[1,0]
	s_mov_b32 s23, 0x3f2c7751
	v_pk_fma_f32 v[110:111], v[82:83], s[30:31], v[108:109] op_sel:[1,0,0] neg_lo:[0,0,1] neg_hi:[0,0,1]
	s_mov_b32 s34, s4
	s_mov_b32 s35, s18
	v_pk_mul_f32 v[112:113], v[96:97], s[28:29] op_sel_hi:[0,1]
	s_mov_b32 s22, 0x3f06c442
	v_pk_add_f32 v[106:107], v[124:125], v[106:107]
	s_mov_b32 s9, 0xbeb8f4ab
	v_pk_fma_f32 v[114:115], v[84:85], s[34:35], v[112:113] op_sel:[1,0,0] neg_lo:[0,0,1] neg_hi:[0,0,1]
	s_mov_b32 s36, s14
	s_mov_b32 s37, s6
	v_pk_mul_f32 v[116:117], v[94:95], s[22:23] op_sel_hi:[0,1]
	s_mov_b32 s8, s29
	v_pk_add_f32 v[106:107], v[106:107], v[110:111]
	s_mov_b32 s13, 0x3f6eb680
	s_mov_b32 s24, 0x3f65296c
	v_pk_fma_f32 v[118:119], v[86:87], s[36:37], v[116:117] op_sel:[1,0,0] neg_lo:[0,0,1] neg_hi:[0,0,1]
	s_mov_b32 s12, s18
	v_pk_mul_f32 v[120:121], v[92:93], s[8:9] op_sel_hi:[0,1]
	v_pk_add_f32 v[106:107], v[106:107], v[114:115]
	s_mov_b32 s25, s11
	v_pk_fma_f32 v[74:75], v[62:63], s[38:39], v[74:75] op_sel:[1,0,0]
	v_pk_fma_f32 v[122:123], v[88:89], s[12:13], v[120:121] op_sel:[1,0,0] neg_lo:[0,0,1] neg_hi:[0,0,1]
	v_pk_add_f32 v[106:107], v[106:107], v[118:119]
	s_mov_b32 s40, s2
	s_mov_b32 s41, s10
	v_pk_mul_f32 v[110:111], v[90:91], s[24:25] op_sel_hi:[0,1]
	v_pk_fma_f32 v[104:105], v[80:81], s[16:17], v[104:105] op_sel:[1,0,0]
	v_pk_add_f32 v[74:75], v[6:7], v[74:75] op_sel:[1,0]
	s_mov_b32 s26, 0x3eb8f4ab
	v_pk_add_f32 v[106:107], v[106:107], v[122:123]
	v_pk_fma_f32 v[114:115], v[78:79], s[40:41], v[110:111] op_sel:[1,0,0] neg_lo:[0,0,1] neg_hi:[0,0,1]
	s_mov_b32 s27, s15
	v_pk_fma_f32 v[108:109], v[82:83], s[30:31], v[108:109] op_sel:[1,0,0]
	v_pk_add_f32 v[74:75], v[74:75], v[104:105]
	v_pk_add_f32 v[106:107], v[106:107], v[114:115]
	s_mov_b32 s42, s13
	s_mov_b32 s43, s14
	v_pk_mul_f32 v[114:115], v[76:77], s[26:27] op_sel_hi:[0,1]
	v_pk_fma_f32 v[112:113], v[84:85], s[34:35], v[112:113] op_sel:[1,0,0]
	v_pk_add_f32 v[74:75], v[74:75], v[108:109]
	v_pk_fma_f32 v[118:119], v[68:69], s[42:43], v[114:115] op_sel:[1,0,0] neg_lo:[0,0,1] neg_hi:[0,0,1]
	v_pk_fma_f32 v[116:117], v[86:87], s[36:37], v[116:117] op_sel:[1,0,0]
	v_pk_add_f32 v[74:75], v[74:75], v[112:113]
	v_pk_add_f32 v[106:107], v[106:107], v[118:119]
	v_pk_fma_f32 v[118:119], v[88:89], s[12:13], v[120:121] op_sel:[1,0,0]
	v_pk_add_f32 v[74:75], v[74:75], v[116:117]
	v_pk_fma_f32 v[104:105], v[78:79], s[40:41], v[110:111] op_sel:[1,0,0]
	v_pk_add_f32 v[74:75], v[74:75], v[118:119]
	s_mov_b32 s16, s11
	v_pk_add_f32 v[74:75], v[74:75], v[104:105]
	v_pk_fma_f32 v[104:105], v[68:69], s[42:43], v[114:115] op_sel:[1,0,0]
	s_mov_b32 s17, s19
	v_pk_add_f32 v[74:75], v[74:75], v[104:105]
	v_pk_mul_f32 v[104:105], v[102:103], s[16:17] op_sel_hi:[0,1]
	s_mov_b32 s30, s5
	s_mov_b32 s31, s22
	;; [unrolled: 1-line block ×6, first 2 shown]
	v_pk_mul_f32 v[108:109], v[100:101], s[30:31] op_sel_hi:[0,1]
	s_mov_b32 s22, s29
	v_pk_fma_f32 v[128:129], v[62:63], s[40:41], v[104:105] op_sel:[1,0,0] neg_lo:[0,0,1] neg_hi:[0,0,1]
	v_pk_fma_f32 v[110:111], v[80:81], s[16:17], v[108:109] op_sel:[1,0,0] neg_lo:[0,0,1] neg_hi:[0,0,1]
	s_mov_b32 s30, s18
	s_mov_b32 s31, s6
	v_pk_mul_f32 v[112:113], v[98:99], s[22:23] op_sel_hi:[0,1]
	s_mov_b32 s27, s3
	v_pk_add_f32 v[128:129], v[6:7], v[128:129] op_sel:[1,0]
	v_pk_fma_f32 v[114:115], v[82:83], s[30:31], v[112:113] op_sel:[1,0,0] neg_lo:[0,0,1] neg_hi:[0,0,1]
	s_mov_b32 s34, s13
	s_mov_b32 s35, s2
	v_pk_mul_f32 v[116:117], v[96:97], s[26:27] op_sel_hi:[0,1]
	s_mov_b32 s36, s3
	s_mov_b32 s37, s5
	v_pk_add_f32 v[110:111], v[128:129], v[110:111]
	v_pk_fma_f32 v[118:119], v[84:85], s[34:35], v[116:117] op_sel:[1,0,0] neg_lo:[0,0,1] neg_hi:[0,0,1]
	s_mov_b32 s26, s2
	s_mov_b32 s27, s4
	v_pk_mul_f32 v[120:121], v[94:95], s[36:37] op_sel_hi:[0,1]
	s_mov_b32 s39, 0x3f7ee86f
	s_mov_b32 s38, s15
	v_pk_add_f32 v[110:111], v[110:111], v[114:115]
	v_pk_fma_f32 v[122:123], v[86:87], s[26:27], v[120:121] op_sel:[1,0,0] neg_lo:[0,0,1] neg_hi:[0,0,1]
	s_mov_b32 s36, s14
	s_mov_b32 s37, s10
	v_pk_mul_f32 v[124:125], v[92:93], s[38:39] op_sel_hi:[0,1]
	v_pk_add_f32 v[110:111], v[110:111], v[118:119]
	s_mov_b32 s8, 0x3f4c4adb
	v_pk_fma_f32 v[104:105], v[62:63], s[40:41], v[104:105] op_sel:[1,0,0]
	v_pk_fma_f32 v[126:127], v[88:89], s[36:37], v[124:125] op_sel:[1,0,0] neg_lo:[0,0,1] neg_hi:[0,0,1]
	v_pk_add_f32 v[110:111], v[110:111], v[122:123]
	s_mov_b32 s12, s20
	v_pk_mul_f32 v[114:115], v[90:91], s[8:9] op_sel_hi:[0,1]
	v_pk_fma_f32 v[108:109], v[80:81], s[16:17], v[108:109] op_sel:[1,0,0]
	v_pk_add_f32 v[104:105], v[6:7], v[104:105] op_sel:[1,0]
	v_pk_add_f32 v[110:111], v[110:111], v[126:127]
	v_pk_fma_f32 v[118:119], v[78:79], s[12:13], v[114:115] op_sel:[1,0,0] neg_lo:[0,0,1] neg_hi:[0,0,1]
	s_mov_b32 s44, s23
	s_mov_b32 s45, s21
	v_pk_fma_f32 v[112:113], v[82:83], s[30:31], v[112:113] op_sel:[1,0,0]
	v_pk_add_f32 v[104:105], v[104:105], v[108:109]
	v_pk_add_f32 v[110:111], v[110:111], v[118:119]
	s_mov_b32 s42, s6
	s_mov_b32 s43, s20
	v_pk_mul_f32 v[118:119], v[76:77], s[44:45] op_sel_hi:[0,1]
	v_pk_fma_f32 v[116:117], v[84:85], s[34:35], v[116:117] op_sel:[1,0,0]
	v_pk_add_f32 v[104:105], v[104:105], v[112:113]
	v_pk_fma_f32 v[122:123], v[68:69], s[42:43], v[118:119] op_sel:[1,0,0] neg_lo:[0,0,1] neg_hi:[0,0,1]
	v_pk_fma_f32 v[120:121], v[86:87], s[26:27], v[120:121] op_sel:[1,0,0]
	v_pk_add_f32 v[104:105], v[104:105], v[116:117]
	v_pk_add_f32 v[110:111], v[110:111], v[122:123]
	v_pk_fma_f32 v[122:123], v[88:89], s[36:37], v[124:125] op_sel:[1,0,0]
	v_pk_add_f32 v[104:105], v[104:105], v[120:121]
	s_mov_b32 s16, s21
	s_mov_b32 s17, s15
	v_mul_f32_e32 v12, 0xbe3c28d5, v102
	v_pk_add_f32 v[104:105], v[104:105], v[122:123]
	v_pk_fma_f32 v[108:109], v[78:79], s[12:13], v[114:115] op_sel:[1,0,0]
	v_pk_mul_f32 v[102:103], v[102:103], s[16:17] op_sel_hi:[0,1]
	s_mov_b32 s26, s29
	s_mov_b32 s27, s24
	s_mov_b32 s21, s14
	v_mul_f32_e32 v16, 0x3eb8f4ab, v100
	v_pk_add_f32 v[104:105], v[104:105], v[108:109]
	v_pk_fma_f32 v[108:109], v[68:69], s[42:43], v[118:119] op_sel:[1,0,0]
	s_mov_b32 s16, s18
	s_mov_b32 s17, s2
	v_pk_mul_f32 v[100:101], v[100:101], s[26:27] op_sel_hi:[0,1]
	s_mov_b32 s28, s9
	s_mov_b32 s29, s11
	v_pk_fma_f32 v[120:121], v[62:63], s[20:21], v[102:103] op_sel:[1,0,0] neg_lo:[0,0,1] neg_hi:[0,0,1]
	v_mul_f32_e32 v22, 0xbf06c442, v98
	v_mul_f32_e32 v38, 0xbf7ba420, v63
	v_pk_add_f32 v[104:105], v[104:105], v[108:109]
	v_pk_fma_f32 v[108:109], v[80:81], s[16:17], v[100:101] op_sel:[1,0,0] neg_lo:[0,0,1] neg_hi:[0,0,1]
	s_mov_b32 s26, s13
	s_mov_b32 s27, s10
	v_pk_mul_f32 v[98:99], v[98:99], s[28:29] op_sel_hi:[0,1]
	s_mov_b32 s30, s15
	s_mov_b32 s31, s8
	v_pk_add_f32 v[120:121], v[6:7], v[120:121] op_sel:[1,0]
	v_pk_fma_f32 v[62:63], v[62:63], s[20:21], v[102:103] op_sel:[1,0,0]
	v_mul_f32_e32 v14, 0x3f6eb680, v81
	v_mul_f32_e32 v26, 0x3f2c7751, v96
	v_pk_fma_f32 v[112:113], v[82:83], s[26:27], v[98:99] op_sel:[1,0,0] neg_lo:[0,0,1] neg_hi:[0,0,1]
	s_mov_b32 s28, s14
	s_mov_b32 s29, s20
	v_pk_mul_f32 v[96:97], v[96:97], s[30:31] op_sel_hi:[0,1]
	s_mov_b32 s8, s39
	v_pk_add_f32 v[108:109], v[120:121], v[108:109]
	v_pk_fma_f32 v[80:81], v[80:81], s[16:17], v[100:101] op_sel:[1,0,0]
	v_pk_add_f32 v[62:63], v[6:7], v[62:63] op_sel:[1,0]
	v_mul_f32_e32 v20, 0xbf59a7d5, v83
	v_mul_f32_e32 v30, 0xbf4c4adb, v94
	v_pk_fma_f32 v[114:115], v[84:85], s[28:29], v[96:97] op_sel:[1,0,0] neg_lo:[0,0,1] neg_hi:[0,0,1]
	s_mov_b32 s11, s13
	v_pk_mul_f32 v[94:95], v[94:95], s[8:9] op_sel_hi:[0,1]
	s_mov_b32 s12, s7
	s_mov_b32 s13, s5
	v_pk_add_f32 v[108:109], v[108:109], v[112:113]
	v_pk_fma_f32 v[82:83], v[82:83], s[26:27], v[98:99] op_sel:[1,0,0]
	v_pk_add_f32 v[62:63], v[62:63], v[80:81]
	v_mul_f32_e32 v24, 0x3f3d2fb0, v85
	v_mul_f32_e32 v34, 0x3f65296c, v92
	v_pk_fma_f32 v[116:117], v[86:87], s[10:11], v[94:95] op_sel:[1,0,0] neg_lo:[0,0,1] neg_hi:[0,0,1]
	s_mov_b32 s8, s6
	s_mov_b32 s9, s4
	v_pk_mul_f32 v[92:93], v[92:93], s[12:13] op_sel_hi:[0,1]
	v_pk_add_f32 v[108:109], v[108:109], v[114:115]
	s_mov_b32 s22, s5
	v_pk_fma_f32 v[84:85], v[84:85], s[28:29], v[96:97] op_sel:[1,0,0]
	v_pk_add_f32 v[62:63], v[62:63], v[82:83]
	v_mul_f32_e32 v28, 0xbf1a4643, v87
	v_mul_f32_e32 v36, 0xbf763a35, v90
	v_pk_fma_f32 v[118:119], v[88:89], s[8:9], v[92:93] op_sel:[1,0,0] neg_lo:[0,0,1] neg_hi:[0,0,1]
	v_pk_add_f32 v[108:109], v[108:109], v[116:117]
	s_mov_b32 s12, s4
	s_mov_b32 s13, s6
	v_pk_mul_f32 v[90:91], v[90:91], s[22:23] op_sel_hi:[0,1]
	v_pk_fma_f32 v[86:87], v[86:87], s[10:11], v[94:95] op_sel:[1,0,0]
	v_pk_add_f32 v[62:63], v[62:63], v[84:85]
	v_mul_f32_e32 v32, 0x3ee437d1, v89
	v_pk_add_f32 v[108:109], v[108:109], v[118:119]
	v_pk_fma_f32 v[112:113], v[78:79], s[12:13], v[90:91] op_sel:[1,0,0] neg_lo:[0,0,1] neg_hi:[0,0,1]
	s_mov_b32 s25, s19
	v_pk_fma_f32 v[88:89], v[88:89], s[8:9], v[92:93] op_sel:[1,0,0]
	v_pk_add_f32 v[62:63], v[62:63], v[86:87]
	v_mul_f32_e32 v18, 0xbe8c1d8e, v79
	v_pk_add_f32 v[108:109], v[108:109], v[112:113]
	s_mov_b32 s3, s18
	v_pk_mul_f32 v[112:113], v[76:77], s[24:25] op_sel_hi:[0,1]
	v_pk_add_f32 v[62:63], v[62:63], v[88:89]
	v_pk_fma_f32 v[78:79], v[78:79], s[12:13], v[90:91] op_sel:[1,0,0]
	v_add_f32_e32 v19, v13, v1
	v_pk_add_f32 v[62:63], v[62:63], v[78:79]
	v_pk_fma_f32 v[78:79], v[68:69], s[2:3], v[112:113] op_sel:[1,0,0]
	v_pk_fma_f32 v[114:115], v[68:69], s[2:3], v[112:113] op_sel:[1,0,0] neg_lo:[0,0,1] neg_hi:[0,0,1]
	v_pk_add_f32 v[62:63], v[62:63], v[78:79]
	v_pk_add_f32 v[78:79], v[14:15], v[16:17] neg_lo:[0,1] neg_hi:[0,1]
	v_pk_add_f32 v[14:15], v[14:15], v[16:17]
	v_pk_add_f32 v[16:17], v[20:21], v[22:23]
	v_mov_b32_e32 v79, v14
	v_pk_add_f32 v[14:15], v[20:21], v[22:23] neg_lo:[0,1] neg_hi:[0,1]
	v_pk_add_f32 v[20:21], v[24:25], v[26:27]
	v_mov_b32_e32 v15, v16
	v_pk_add_f32 v[16:17], v[24:25], v[26:27] neg_lo:[0,1] neg_hi:[0,1]
	;; [unrolled: 3-line block ×4, first 2 shown]
	v_mul_f32_e32 v68, 0x3dbcf732, v69
	v_mov_b32_e32 v23, v24
	v_pk_add_f32 v[24:25], v[38:39], v[12:13] neg_lo:[0,1] neg_hi:[0,1]
	v_pk_add_f32 v[12:13], v[38:39], v[12:13]
	v_mul_f32_e32 v76, 0x3f7ee86f, v76
	v_mov_b32_e32 v25, v12
	v_pk_add_f32 v[6:7], v[6:7], v[24:25] op_sel:[1,0]
	v_pk_add_f32 v[12:13], v[18:19], v[36:37] neg_lo:[0,1] neg_hi:[0,1]
	v_pk_add_f32 v[6:7], v[6:7], v[78:79]
	v_mul_u32_u24_e32 v1, 0x44, v64
	v_pk_add_f32 v[6:7], v[6:7], v[14:15]
	v_pk_add_f32 v[14:15], v[18:19], v[36:37]
	;; [unrolled: 1-line block ×3, first 2 shown]
	v_mov_b32_e32 v13, v14
	v_pk_add_f32 v[6:7], v[6:7], v[20:21]
	v_pk_add_f32 v[14:15], v[68:69], v[76:77]
	;; [unrolled: 1-line block ×5, first 2 shown]
	v_pk_add_f32 v[12:13], v[68:69], v[76:77] neg_lo:[0,1] neg_hi:[0,1]
	s_nop 0
	v_mov_b32_e32 v13, v14
	v_pk_add_f32 v[6:7], v[6:7], v[12:13]
	v_add3_u32 v12, 0, v1, v71
	ds_write2_b32 v12, v8, v9 offset1:1
	ds_write2_b32 v12, v106, v107 offset0:2 offset1:3
	ds_write2_b32 v12, v110, v111 offset0:4 offset1:5
	;; [unrolled: 1-line block ×6, first 2 shown]
	v_mov_b32_e32 v1, v74
	ds_write2_b32 v12, v75, v74 offset0:14 offset1:15
	ds_write_b32 v12, v19 offset:64
.LBB0_18:
	s_or_b64 exec, exec, s[0:1]
	v_readlane_b32 s4, v206, 6
	v_mov_b32_e32 v1, 0
	v_readlane_b32 s5, v206, 7
	v_add_u32_e32 v62, 34, v134
	s_movk_i32 s0, 0xf1
	v_lshl_add_u64 v[16:17], v[0:1], 3, s[4:5]
	v_mul_lo_u16_sdwa v0, v62, s0 dst_sel:DWORD dst_unused:UNUSED_PAD src0_sel:BYTE_0 src1_sel:DWORD
	v_lshrrev_b16_e32 v0, 12, v0
	v_mul_lo_u16_e32 v0, 17, v0
	v_mov_b32_e32 v18, 5
	v_sub_u16_e32 v23, v62, v0
	v_lshlrev_b32_sdwa v0, v18, v23 dst_sel:DWORD dst_unused:UNUSED_PAD src0_sel:DWORD src1_sel:BYTE_0
	v_add_u32_e32 v32, 51, v134
	s_waitcnt lgkmcnt(0)
	; wave barrier
	s_waitcnt lgkmcnt(0)
	global_load_dwordx4 v[6:9], v[16:17], off
	global_load_dwordx4 v[12:15], v[16:17], off offset:16
	global_load_dwordx4 v[24:27], v0, s[4:5]
	global_load_dwordx4 v[28:31], v0, s[4:5] offset:16
	v_mul_lo_u16_sdwa v0, v32, s0 dst_sel:DWORD dst_unused:UNUSED_PAD src0_sel:BYTE_0 src1_sel:DWORD
	v_lshrrev_b16_e32 v0, 12, v0
	v_mul_lo_u16_e32 v0, 17, v0
	v_sub_u16_e32 v33, v32, v0
	v_lshlrev_b32_sdwa v0, v18, v33 dst_sel:DWORD dst_unused:UNUSED_PAD src0_sel:DWORD src1_sel:BYTE_0
	global_load_dwordx4 v[34:37], v0, s[4:5]
	global_load_dwordx4 v[74:77], v0, s[4:5] offset:16
	v_add_u32_e32 v0, 0x44, v134
	v_mul_lo_u16_sdwa v19, v0, s0 dst_sel:DWORD dst_unused:UNUSED_PAD src0_sel:BYTE_0 src1_sel:DWORD
	v_lshrrev_b16_e32 v19, 12, v19
	v_mul_lo_u16_e32 v19, 17, v19
	v_sub_u16_e32 v63, v0, v19
	v_lshlrev_b32_sdwa v18, v18, v63 dst_sel:DWORD dst_unused:UNUSED_PAD src0_sel:DWORD src1_sel:BYTE_0
	ds_read_b32 v22, v65
	ds_read2_b32 v[38:39], v66 offset0:85 offset1:102
	global_load_dwordx4 v[78:81], v18, s[4:5] offset:16
	global_load_dwordx4 v[82:85], v18, s[4:5]
	ds_read2_b32 v[68:69], v66 offset0:153 offset1:170
	ds_read2_b32 v[86:87], v70 offset0:127 offset1:144
	;; [unrolled: 1-line block ×11, first 2 shown]
	v_mov_b32_e32 v73, 2
	v_lshlrev_b32_sdwa v23, v73, v23 dst_sel:DWORD dst_unused:UNUSED_PAD src0_sel:DWORD src1_sel:BYTE_0
	v_add3_u32 v23, 0, v23, v71
	s_waitcnt lgkmcnt(0)
	; wave barrier
	s_waitcnt lgkmcnt(0)
	v_readlane_b32 s6, v206, 8
	v_readlane_b32 s10, v206, 10
	s_mov_b32 s0, 0x3e9e377a
	s_mov_b32 s6, 0x3f737871
	;; [unrolled: 1-line block ×3, first 2 shown]
	v_readlane_b32 s11, v206, 11
	v_readlane_b32 s7, v206, 9
	s_waitcnt vmcnt(7)
	v_mul_f32_e32 v102, v38, v7
	v_mul_f32_e32 v103, v60, v7
	;; [unrolled: 1-line block ×4, first 2 shown]
	s_waitcnt vmcnt(6)
	v_mul_f32_e32 v106, v86, v13
	v_mul_f32_e32 v107, v58, v13
	;; [unrolled: 1-line block ×12, first 2 shown]
	v_fmac_f32_e32 v102, v60, v6
	v_fma_f32 v38, v38, v6, -v103
	v_fmac_f32_e32 v104, v47, v8
	v_fma_f32 v47, v69, v8, -v105
	;; [unrolled: 2-line block ×8, first 2 shown]
	s_waitcnt vmcnt(5)
	v_mul_f32_e32 v12, v94, v25
	v_mul_f32_e32 v13, v52, v25
	;; [unrolled: 1-line block ×4, first 2 shown]
	s_waitcnt vmcnt(4)
	v_mul_f32_e32 v25, v96, v29
	v_fmac_f32_e32 v12, v52, v24
	v_fma_f32 v13, v94, v24, -v13
	v_fmac_f32_e32 v14, v57, v26
	v_fma_f32 v15, v91, v26, -v15
	v_mul_f32_e32 v24, v50, v29
	v_mul_f32_e32 v26, v93, v31
	;; [unrolled: 1-line block ×3, first 2 shown]
	s_waitcnt vmcnt(3)
	v_mul_f32_e32 v29, v95, v35
	v_fmac_f32_e32 v26, v55, v30
	v_fma_f32 v27, v93, v30, -v27
	v_fmac_f32_e32 v29, v53, v34
	v_mul_f32_e32 v30, v53, v35
	v_add_f32_e32 v53, v104, v106
	v_fma_f32 v53, -0.5, v53, v72
	v_sub_f32_e32 v54, v38, v43
	v_fmamk_f32 v55, v54, 0xbf737871, v53
	v_sub_f32_e32 v56, v47, v58
	v_sub_f32_e32 v57, v102, v104
	;; [unrolled: 1-line block ×3, first 2 shown]
	v_fmac_f32_e32 v53, 0x3f737871, v54
	v_fmac_f32_e32 v55, 0xbf167918, v56
	v_add_f32_e32 v57, v57, v59
	v_fmac_f32_e32 v53, 0x3f167918, v56
	v_fmac_f32_e32 v55, 0x3e9e377a, v57
	v_fmac_f32_e32 v53, 0x3e9e377a, v57
	v_add_f32_e32 v57, v102, v108
	v_fmac_f32_e32 v25, v50, v28
	v_fma_f32 v24, v96, v28, -v24
	v_lshlrev_b32_sdwa v28, v73, v33 dst_sel:DWORD dst_unused:UNUSED_PAD src0_sel:DWORD src1_sel:BYTE_0
	v_mul_f32_e32 v31, v98, v37
	v_mul_f32_e32 v33, v48, v37
	v_add_f32_e32 v52, v72, v102
	v_fmac_f32_e32 v72, -0.5, v57
	v_fmac_f32_e32 v31, v48, v36
	v_fma_f32 v33, v98, v36, -v33
	s_waitcnt vmcnt(2)
	v_mul_f32_e32 v36, v100, v77
	v_fmamk_f32 v57, v56, 0x3f737871, v72
	v_sub_f32_e32 v59, v104, v102
	v_sub_f32_e32 v60, v106, v108
	v_fmac_f32_e32 v72, 0xbf737871, v56
	v_fmac_f32_e32 v36, v44, v76
	v_mul_f32_e32 v37, v44, v77
	s_waitcnt vmcnt(0)
	v_mul_f32_e32 v44, v68, v83
	v_fmac_f32_e32 v57, 0xbf167918, v54
	v_add_f32_e32 v59, v59, v60
	v_fmac_f32_e32 v72, 0x3f167918, v54
	v_add_f32_e32 v56, v47, v58
	v_fmac_f32_e32 v44, v46, v82
	v_mul_f32_e32 v46, v46, v83
	v_fmac_f32_e32 v57, 0x3e9e377a, v59
	v_fmac_f32_e32 v72, 0x3e9e377a, v59
	v_add_f32_e32 v54, v22, v38
	v_fma_f32 v56, -0.5, v56, v22
	v_sub_f32_e32 v59, v102, v108
	v_lshlrev_b32_sdwa v39, v73, v63 dst_sel:DWORD dst_unused:UNUSED_PAD src0_sel:DWORD src1_sel:BYTE_0
	v_fma_f32 v46, v68, v82, -v46
	v_add_f32_e32 v54, v54, v47
	v_fmamk_f32 v60, v59, 0x3f737871, v56
	v_sub_f32_e32 v61, v104, v106
	v_sub_f32_e32 v63, v38, v47
	;; [unrolled: 1-line block ×3, first 2 shown]
	v_fmac_f32_e32 v56, 0xbf737871, v59
	v_add_f32_e32 v54, v54, v58
	v_fmac_f32_e32 v60, 0x3f167918, v61
	v_add_f32_e32 v63, v63, v68
	;; [unrolled: 2-line block ×3, first 2 shown]
	v_fmac_f32_e32 v60, 0x3e9e377a, v63
	v_fmac_f32_e32 v56, 0x3e9e377a, v63
	v_add_f32_e32 v63, v38, v43
	v_sub_f32_e32 v38, v47, v38
	v_sub_f32_e32 v43, v58, v43
	v_fmac_f32_e32 v22, -0.5, v63
	v_add_f32_e32 v38, v38, v43
	v_add_f32_e32 v43, v111, v112
	v_fmamk_f32 v63, v61, 0xbf737871, v22
	v_fmac_f32_e32 v22, 0x3f737871, v61
	v_fma_f32 v43, -0.5, v43, v40
	v_sub_f32_e32 v47, v6, v9
	v_fmac_f32_e32 v63, 0x3f167918, v59
	v_fmac_f32_e32 v22, 0xbf167918, v59
	v_fmamk_f32 v58, v47, 0xbf737871, v43
	v_sub_f32_e32 v59, v7, v8
	v_sub_f32_e32 v61, v110, v111
	;; [unrolled: 1-line block ×3, first 2 shown]
	v_fmac_f32_e32 v43, 0x3f737871, v47
	v_fmac_f32_e32 v58, 0xbf167918, v59
	v_add_f32_e32 v61, v61, v68
	v_fmac_f32_e32 v43, 0x3f167918, v59
	v_fmac_f32_e32 v58, 0x3e9e377a, v61
	;; [unrolled: 1-line block ×3, first 2 shown]
	v_add_f32_e32 v61, v110, v113
	v_fmac_f32_e32 v63, 0x3e9e377a, v38
	v_fmac_f32_e32 v22, 0x3e9e377a, v38
	v_add_f32_e32 v38, v40, v110
	v_fma_f32 v40, -0.5, v61, v40
	v_fmamk_f32 v61, v59, 0x3f737871, v40
	v_fmac_f32_e32 v40, 0xbf737871, v59
	v_fmac_f32_e32 v61, 0xbf167918, v47
	;; [unrolled: 1-line block ×3, first 2 shown]
	v_add_f32_e32 v47, v20, v6
	v_add_f32_e32 v47, v47, v7
	v_sub_f32_e32 v68, v111, v110
	v_sub_f32_e32 v69, v112, v113
	v_add_f32_e32 v47, v47, v8
	v_add_f32_e32 v68, v68, v69
	v_add_f32_e32 v59, v47, v9
	v_add_f32_e32 v47, v7, v8
	v_fma_f32 v30, v95, v34, -v30
	v_mul_f32_e32 v34, v97, v75
	v_mul_f32_e32 v35, v51, v75
	v_fmac_f32_e32 v61, 0x3e9e377a, v68
	v_fmac_f32_e32 v40, 0x3e9e377a, v68
	v_fma_f32 v68, -0.5, v47, v20
	v_sub_f32_e32 v47, v110, v113
	v_fmac_f32_e32 v34, v51, v74
	v_fma_f32 v35, v97, v74, -v35
	v_fmamk_f32 v69, v47, 0x3f737871, v68
	v_sub_f32_e32 v73, v111, v112
	v_sub_f32_e32 v74, v6, v7
	;; [unrolled: 1-line block ×3, first 2 shown]
	v_fmac_f32_e32 v68, 0xbf737871, v47
	v_fmac_f32_e32 v69, 0x3f167918, v73
	v_add_f32_e32 v74, v74, v75
	v_fmac_f32_e32 v68, 0xbf167918, v73
	v_fmac_f32_e32 v69, 0x3e9e377a, v74
	;; [unrolled: 1-line block ×3, first 2 shown]
	v_add_f32_e32 v74, v6, v9
	v_sub_f32_e32 v6, v7, v6
	v_sub_f32_e32 v7, v8, v9
	v_fma_f32 v20, -0.5, v74, v20
	v_add_f32_e32 v6, v6, v7
	v_add_f32_e32 v7, v14, v25
	v_fmamk_f32 v74, v73, 0xbf737871, v20
	v_fmac_f32_e32 v20, 0x3f737871, v73
	v_fma_f32 v7, -0.5, v7, v41
	v_sub_f32_e32 v8, v13, v27
	v_fmac_f32_e32 v74, 0x3f167918, v47
	v_fmac_f32_e32 v20, 0xbf167918, v47
	v_fmamk_f32 v9, v8, 0xbf737871, v7
	v_sub_f32_e32 v47, v15, v24
	v_sub_f32_e32 v73, v12, v14
	v_sub_f32_e32 v75, v26, v25
	v_fmac_f32_e32 v7, 0x3f737871, v8
	v_fmac_f32_e32 v9, 0xbf167918, v47
	v_add_f32_e32 v73, v73, v75
	v_fmac_f32_e32 v7, 0x3f167918, v47
	v_fmac_f32_e32 v9, 0x3e9e377a, v73
	;; [unrolled: 1-line block ×3, first 2 shown]
	v_add_f32_e32 v73, v12, v26
	v_fmac_f32_e32 v74, 0x3e9e377a, v6
	v_fmac_f32_e32 v20, 0x3e9e377a, v6
	v_add_f32_e32 v6, v41, v12
	v_fmac_f32_e32 v41, -0.5, v73
	v_fmamk_f32 v73, v47, 0x3f737871, v41
	v_fmac_f32_e32 v41, 0xbf737871, v47
	v_fmac_f32_e32 v73, 0xbf167918, v8
	v_fmac_f32_e32 v41, 0x3f167918, v8
	v_add_f32_e32 v8, v21, v13
	v_fma_f32 v37, v100, v76, -v37
	v_sub_f32_e32 v75, v14, v12
	v_sub_f32_e32 v76, v25, v26
	v_add_f32_e32 v8, v8, v15
	v_add_f32_e32 v75, v75, v76
	;; [unrolled: 1-line block ×3, first 2 shown]
	v_fmac_f32_e32 v73, 0x3e9e377a, v75
	v_fmac_f32_e32 v41, 0x3e9e377a, v75
	v_add_f32_e32 v75, v8, v27
	v_add_f32_e32 v8, v15, v24
	;; [unrolled: 1-line block ×3, first 2 shown]
	v_fma_f32 v76, -0.5, v8, v21
	v_sub_f32_e32 v8, v12, v26
	v_add_f32_e32 v6, v6, v25
	v_fmamk_f32 v77, v8, 0x3f737871, v76
	v_sub_f32_e32 v12, v14, v25
	v_sub_f32_e32 v14, v13, v15
	;; [unrolled: 1-line block ×3, first 2 shown]
	v_fmac_f32_e32 v76, 0xbf737871, v8
	v_fmac_f32_e32 v77, 0x3f167918, v12
	v_add_f32_e32 v14, v14, v25
	v_fmac_f32_e32 v76, 0xbf167918, v12
	v_mul_f32_e32 v50, v88, v79
	v_fmac_f32_e32 v77, 0x3e9e377a, v14
	v_fmac_f32_e32 v76, 0x3e9e377a, v14
	v_add_f32_e32 v14, v13, v27
	v_fmac_f32_e32 v50, v42, v78
	v_mul_f32_e32 v42, v42, v79
	v_fmac_f32_e32 v21, -0.5, v14
	v_fma_f32 v42, v88, v78, -v42
	v_fmamk_f32 v78, v12, 0xbf737871, v21
	v_sub_f32_e32 v13, v15, v13
	v_sub_f32_e32 v14, v24, v27
	v_fmac_f32_e32 v21, 0x3f737871, v12
	v_fmac_f32_e32 v78, 0x3f167918, v8
	v_add_f32_e32 v13, v13, v14
	v_fmac_f32_e32 v21, 0xbf167918, v8
	v_add_f32_e32 v12, v31, v34
	v_fmac_f32_e32 v78, 0x3e9e377a, v13
	v_fmac_f32_e32 v21, 0x3e9e377a, v13
	v_fma_f32 v12, -0.5, v12, v10
	v_sub_f32_e32 v13, v30, v37
	v_fmamk_f32 v14, v13, 0xbf737871, v12
	v_sub_f32_e32 v15, v33, v35
	v_sub_f32_e32 v24, v29, v31
	;; [unrolled: 1-line block ×3, first 2 shown]
	v_fmac_f32_e32 v12, 0x3f737871, v13
	v_fmac_f32_e32 v14, 0xbf167918, v15
	v_add_f32_e32 v24, v24, v25
	v_fmac_f32_e32 v12, 0x3f167918, v15
	v_fmac_f32_e32 v14, 0x3e9e377a, v24
	;; [unrolled: 1-line block ×3, first 2 shown]
	v_add_f32_e32 v24, v29, v36
	v_add_f32_e32 v8, v10, v29
	v_fma_f32 v10, -0.5, v24, v10
	v_fmamk_f32 v24, v15, 0x3f737871, v10
	v_fmac_f32_e32 v10, 0xbf737871, v15
	v_fmac_f32_e32 v24, 0xbf167918, v13
	;; [unrolled: 1-line block ×3, first 2 shown]
	v_add_f32_e32 v13, v18, v30
	v_add_f32_e32 v13, v13, v33
	v_mul_f32_e32 v51, v101, v81
	v_add_f32_e32 v13, v13, v35
	v_fmac_f32_e32 v51, v45, v80
	v_mul_f32_e32 v45, v45, v81
	v_add_f32_e32 v6, v6, v26
	v_sub_f32_e32 v25, v31, v29
	v_sub_f32_e32 v26, v34, v36
	v_add_f32_e32 v79, v13, v37
	v_add_f32_e32 v13, v33, v35
	v_fma_f32 v45, v101, v80, -v45
	v_add_f32_e32 v25, v25, v26
	v_fma_f32 v80, -0.5, v13, v18
	v_sub_f32_e32 v13, v29, v36
	v_fmac_f32_e32 v24, 0x3e9e377a, v25
	v_fmac_f32_e32 v10, 0x3e9e377a, v25
	v_fmamk_f32 v29, v13, 0x3f737871, v80
	v_sub_f32_e32 v15, v31, v34
	v_sub_f32_e32 v25, v30, v33
	;; [unrolled: 1-line block ×3, first 2 shown]
	v_fmac_f32_e32 v80, 0xbf737871, v13
	v_fmac_f32_e32 v29, 0x3f167918, v15
	v_add_f32_e32 v25, v25, v26
	v_fmac_f32_e32 v80, 0xbf167918, v15
	v_fmac_f32_e32 v29, 0x3e9e377a, v25
	;; [unrolled: 1-line block ×3, first 2 shown]
	v_add_f32_e32 v25, v30, v37
	v_mul_f32_e32 v48, v99, v85
	v_add_f32_e32 v8, v8, v31
	v_fma_f32 v18, -0.5, v25, v18
	v_fmac_f32_e32 v48, v49, v84
	v_add_f32_e32 v8, v8, v34
	v_fmamk_f32 v34, v15, 0xbf737871, v18
	v_sub_f32_e32 v25, v33, v30
	v_sub_f32_e32 v26, v35, v37
	v_fmac_f32_e32 v18, 0x3f737871, v15
	v_mul_f32_e32 v49, v49, v85
	v_fmac_f32_e32 v34, 0x3f167918, v13
	v_add_f32_e32 v25, v25, v26
	v_fmac_f32_e32 v18, 0xbf167918, v13
	v_add_f32_e32 v15, v48, v50
	v_fma_f32 v49, v99, v84, -v49
	v_fmac_f32_e32 v34, 0x3e9e377a, v25
	v_fmac_f32_e32 v18, 0x3e9e377a, v25
	v_fma_f32 v15, -0.5, v15, v11
	v_sub_f32_e32 v25, v46, v45
	v_fmamk_f32 v26, v25, 0xbf737871, v15
	v_sub_f32_e32 v27, v49, v42
	v_sub_f32_e32 v30, v44, v48
	;; [unrolled: 1-line block ×3, first 2 shown]
	v_fmac_f32_e32 v15, 0x3f737871, v25
	v_fmac_f32_e32 v26, 0xbf167918, v27
	v_add_f32_e32 v30, v30, v31
	v_fmac_f32_e32 v15, 0x3f167918, v27
	v_fmac_f32_e32 v26, 0x3e9e377a, v30
	;; [unrolled: 1-line block ×3, first 2 shown]
	v_add_f32_e32 v30, v44, v51
	v_add_f32_e32 v13, v11, v44
	v_fmac_f32_e32 v11, -0.5, v30
	v_fmamk_f32 v30, v27, 0x3f737871, v11
	v_fmac_f32_e32 v11, 0xbf737871, v27
	v_fmac_f32_e32 v30, 0xbf167918, v25
	v_fmac_f32_e32 v11, 0x3f167918, v25
	v_add_f32_e32 v25, v19, v46
	v_add_f32_e32 v25, v25, v49
	v_sub_f32_e32 v31, v48, v44
	v_sub_f32_e32 v33, v50, v51
	v_add_f32_e32 v25, v25, v42
	v_add_f32_e32 v31, v31, v33
	;; [unrolled: 1-line block ×4, first 2 shown]
	v_fma_f32 v35, -0.5, v25, v19
	v_sub_f32_e32 v25, v44, v51
	v_add_f32_e32 v8, v8, v36
	v_fmac_f32_e32 v30, 0x3e9e377a, v31
	v_fmac_f32_e32 v11, 0x3e9e377a, v31
	v_fmamk_f32 v44, v25, 0x3f737871, v35
	v_sub_f32_e32 v27, v48, v50
	v_sub_f32_e32 v31, v46, v49
	;; [unrolled: 1-line block ×3, first 2 shown]
	v_fmac_f32_e32 v35, 0xbf737871, v25
	v_fmac_f32_e32 v44, 0x3f167918, v27
	v_add_f32_e32 v31, v31, v36
	v_fmac_f32_e32 v35, 0xbf167918, v27
	v_add_f32_e32 v52, v52, v104
	v_fmac_f32_e32 v44, 0x3e9e377a, v31
	v_fmac_f32_e32 v35, 0x3e9e377a, v31
	v_add_f32_e32 v31, v46, v45
	v_add_f32_e32 v52, v52, v106
	;; [unrolled: 1-line block ×4, first 2 shown]
	v_fmac_f32_e32 v19, -0.5, v31
	v_add_f32_e32 v52, v52, v108
	v_add_f32_e32 v38, v38, v112
	;; [unrolled: 1-line block ×3, first 2 shown]
	v_fmamk_f32 v50, v27, 0xbf737871, v19
	v_sub_f32_e32 v31, v49, v46
	v_sub_f32_e32 v36, v42, v45
	v_fmac_f32_e32 v19, 0x3f737871, v27
	v_add3_u32 v28, 0, v28, v71
	v_add3_u32 v42, 0, v39, v71
	v_add_f32_e32 v38, v38, v113
	v_add_f32_e32 v13, v13, v51
	v_fmac_f32_e32 v50, 0x3f167918, v25
	v_add_f32_e32 v31, v31, v36
	v_fmac_f32_e32 v19, 0xbf167918, v25
	ds_write2_b32 v66, v52, v55 offset1:17
	ds_write2_b32 v66, v57, v72 offset0:34 offset1:51
	ds_write2_b32 v66, v53, v38 offset0:68 offset1:85
	;; [unrolled: 1-line block ×6, first 2 shown]
	ds_write_b32 v23, v7 offset:952
	v_add_u32_e32 v40, 0x200, v28
	v_add_u32_e32 v41, 0x400, v28
	v_add_u32_e32 v43, 0x400, v42
	v_fmac_f32_e32 v50, 0x3e9e377a, v31
	v_fmac_f32_e32 v19, 0x3e9e377a, v31
	ds_write2_b32 v40, v8, v14 offset0:127 offset1:144
	ds_write2_b32 v41, v24, v10 offset0:33 offset1:50
	ds_write_b32 v28, v12 offset:1292
	ds_write2_b32 v43, v13, v26 offset0:84 offset1:101
	ds_write2_b32 v43, v30, v11 offset0:118 offset1:135
	ds_write_b32 v42, v15 offset:1632
	s_waitcnt lgkmcnt(0)
	; wave barrier
	s_waitcnt lgkmcnt(0)
	ds_read_b32 v52, v65
	ds_read2_b32 v[48:49], v66 offset0:85 offset1:102
	ds_read2_b32 v[10:11], v66 offset0:153 offset1:170
	;; [unrolled: 1-line block ×12, first 2 shown]
	s_waitcnt lgkmcnt(0)
	; wave barrier
	s_waitcnt lgkmcnt(0)
	ds_write2_b32 v66, v54, v60 offset1:17
	ds_write2_b32 v66, v63, v22 offset0:34 offset1:51
	ds_write2_b32 v66, v56, v59 offset0:68 offset1:85
	;; [unrolled: 1-line block ×6, first 2 shown]
	ds_write_b32 v23, v76 offset:952
	ds_write2_b32 v40, v79, v29 offset0:127 offset1:144
	ds_write2_b32 v41, v34, v18 offset0:33 offset1:50
	ds_write_b32 v28, v80 offset:1292
	ds_write2_b32 v43, v33, v44 offset0:84 offset1:101
	ds_write2_b32 v43, v50, v19 offset0:118 offset1:135
	ds_write_b32 v42, v35 offset:1632
	s_waitcnt lgkmcnt(0)
	; wave barrier
	s_waitcnt lgkmcnt(0)
	s_and_saveexec_b64 s[2:3], s[10:11]
	s_cbranch_execz .LBB0_20
; %bb.19:
	global_load_dwordx4 v[68:71], v[16:17], off offset:544
	global_load_dwordx4 v[72:75], v[16:17], off offset:560
	v_readlane_b32 s2, v206, 12
	v_readlane_b32 s3, v206, 13
	v_lshlrev_b32_e32 v0, 2, v0
	v_mul_lo_u32 v19, s2, v5
	v_mul_lo_u32 v18, s3, v4
	v_mad_u64_u32 v[54:55], s[2:3], s2, v4, 0
	s_mov_b32 s2, 0xc0c0c0c1
	v_add_u32_e32 v42, 0x400, v66
	v_add_u32_e32 v43, 0x200, v66
	v_lshl_add_u64 v[28:29], v[0:1], 3, s[4:5]
	v_lshlrev_b32_e32 v0, 2, v32
	v_mul_hi_u32 v60, v134, s2
	ds_read2_b32 v[20:21], v66 offset0:153 offset1:170
	ds_read2_b32 v[16:17], v66 offset0:221 offset1:238
	;; [unrolled: 1-line block ×7, first 2 shown]
	ds_read_b32 v53, v65
	s_movk_i32 s1, 0x55
	v_add3_u32 v55, v55, v19, v18
	ds_read2_b32 v[22:23], v42 offset0:135 offset1:152
	ds_read2_b32 v[18:19], v42 offset0:67 offset1:84
	;; [unrolled: 1-line block ×5, first 2 shown]
	v_lshl_add_u64 v[42:43], v[0:1], 3, s[4:5]
	v_lshlrev_b32_e32 v0, 2, v62
	v_lshrrev_b32_e32 v62, 6, v60
	v_readlane_b32 s12, v206, 0
	v_readlane_b32 s14, v206, 2
	;; [unrolled: 1-line block ×3, first 2 shown]
	v_mul_lo_u32 v62, v62, s1
	v_sub_u32_e32 v63, v134, v62
	v_lshl_add_u64 v[60:61], v[54:55], 3, s[14:15]
	v_lshl_add_u64 v[54:55], v[0:1], 3, s[4:5]
	v_lshlrev_b32_e32 v0, 2, v64
	v_readlane_b32 s10, v206, 4
	v_lshl_add_u64 v[2:3], v[2:3], 3, v[60:61]
	v_lshl_add_u64 v[0:1], v[0:1], 3, s[4:5]
	v_mad_u64_u32 v[60:61], s[4:5], s10, v63, 0
	v_readlane_b32 s11, v206, 5
	v_add_u32_e32 v81, 0x55, v63
	v_add_u32_e32 v83, 0xaa, v63
	;; [unrolled: 1-line block ×4, first 2 shown]
	v_mov_b32_e32 v62, v61
	v_mad_u64_u32 v[64:65], s[4:5], s10, v81, 0
	v_mad_u64_u32 v[66:67], s[4:5], s10, v83, 0
	;; [unrolled: 1-line block ×5, first 2 shown]
	v_mov_b32_e32 v82, v65
	v_mov_b32_e32 v84, v67
	;; [unrolled: 1-line block ×5, first 2 shown]
	s_waitcnt lgkmcnt(3)
	v_mov_b32_e32 v80, v19
	v_mad_u64_u32 v[62:63], s[4:5], s11, v81, v[82:83]
	v_mad_u64_u32 v[82:83], s[4:5], s11, v83, v[84:85]
	v_mad_u64_u32 v[84:85], s[4:5], s11, v85, v[86:87]
	v_mad_u64_u32 v[86:87], s[4:5], s11, v87, v[88:89]
	v_lshl_add_u64 v[88:89], v[60:61], 3, v[2:3]
	v_mov_b32_e32 v65, v62
	v_mov_b32_e32 v67, v82
	;; [unrolled: 1-line block ×4, first 2 shown]
	v_lshl_add_u64 v[82:83], v[64:65], 3, v[2:3]
	v_lshl_add_u64 v[84:85], v[66:67], 3, v[2:3]
	;; [unrolled: 1-line block ×4, first 2 shown]
	s_movk_i32 s3, 0x1a9
	v_readlane_b32 s13, v206, 1
	s_waitcnt vmcnt(1)
	v_pk_mul_f32 v[60:61], v[56:57], v[68:69] op_sel_hi:[0,1]
	s_waitcnt vmcnt(0)
	v_pk_mul_f32 v[62:63], v[80:81], v[74:75] op_sel_hi:[0,1]
	v_pk_fma_f32 v[80:81], v[48:49], v[68:69], v[60:61] op_sel:[0,0,1] op_sel_hi:[1,1,0]
	v_pk_fma_f32 v[60:61], v[48:49], v[68:69], v[60:61] op_sel:[0,0,1] op_sel_hi:[0,1,0] neg_lo:[1,0,0] neg_hi:[1,0,0]
	v_mov_b32_e32 v48, v7
	v_mov_b32_e32 v81, v61
	v_pk_fma_f32 v[68:69], v[48:49], v[74:75], v[62:63] op_sel:[0,0,1] op_sel_hi:[1,1,0]
	v_pk_fma_f32 v[60:61], v[48:49], v[74:75], v[62:63] op_sel:[0,0,1] op_sel_hi:[0,1,0] neg_lo:[1,0,0] neg_hi:[1,0,0]
	v_mov_b32_e32 v48, v21
	v_mov_b32_e32 v69, v61
	v_pk_mul_f32 v[60:61], v[48:49], v[70:71] op_sel_hi:[0,1]
	v_mov_b32_e32 v48, v11
	v_pk_fma_f32 v[74:75], v[48:49], v[70:71], v[60:61] op_sel:[0,0,1] op_sel_hi:[1,1,0]
	v_pk_fma_f32 v[60:61], v[48:49], v[70:71], v[60:61] op_sel:[0,0,1] op_sel_hi:[0,1,0] neg_lo:[1,0,0] neg_hi:[1,0,0]
	v_mov_b32_e32 v75, v61
	s_waitcnt lgkmcnt(0)
	v_pk_mul_f32 v[60:61], v[58:59], v[72:73] op_sel_hi:[0,1]
	v_pk_fma_f32 v[70:71], v[46:47], v[72:73], v[60:61] op_sel:[0,0,1] op_sel_hi:[1,1,0]
	v_pk_fma_f32 v[60:61], v[46:47], v[72:73], v[60:61] op_sel:[0,0,1] op_sel_hi:[0,1,0] neg_lo:[1,0,0] neg_hi:[1,0,0]
	v_mov_b32_e32 v71, v61
	v_pk_add_f32 v[60:61], v[80:81], v[74:75] neg_lo:[0,1] neg_hi:[0,1]
	v_pk_add_f32 v[62:63], v[68:69], v[70:71] neg_lo:[0,1] neg_hi:[0,1]
	v_pk_add_f32 v[96:97], v[52:53], v[80:81]
	v_pk_add_f32 v[72:73], v[60:61], v[62:63]
	;; [unrolled: 1-line block ×3, first 2 shown]
	v_pk_add_f32 v[90:91], v[80:81], v[68:69] neg_lo:[0,1] neg_hi:[0,1]
	v_pk_fma_f32 v[86:87], v[60:61], 0.5, v[52:53] op_sel_hi:[1,0,1] neg_lo:[1,0,0] neg_hi:[1,0,0]
	global_load_dwordx4 v[60:63], v[0:1], off offset:560
	global_load_dwordx4 v[64:67], v[0:1], off offset:544
	v_pk_add_f32 v[96:97], v[96:97], v[74:75]
	v_pk_fma_f32 v[92:93], v[90:91], s[6:7], v[86:87] op_sel:[1,0,0] op_sel_hi:[0,0,1]
	v_pk_fma_f32 v[0:1], v[90:91], s[6:7], v[86:87] op_sel:[1,0,0] op_sel_hi:[0,0,1] neg_lo:[1,0,0] neg_hi:[1,0,0]
	v_pk_add_f32 v[86:87], v[74:75], v[70:71] neg_lo:[0,1] neg_hi:[0,1]
	v_pk_add_f32 v[96:97], v[96:97], v[70:71]
	v_pk_fma_f32 v[0:1], v[86:87], s[8:9], v[0:1] op_sel:[1,0,0] op_sel_hi:[0,0,1] neg_lo:[1,0,0] neg_hi:[1,0,0]
	v_pk_fma_f32 v[92:93], v[86:87], s[8:9], v[92:93] op_sel:[1,0,0] op_sel_hi:[0,0,1]
	v_pk_add_f32 v[96:97], v[68:69], v[96:97]
	v_pk_add_f32 v[70:71], v[70:71], v[68:69] neg_lo:[0,1] neg_hi:[0,1]
	v_pk_add_f32 v[68:69], v[80:81], v[68:69]
	v_mov_b32_e32 v95, v1
	v_mov_b32_e32 v1, v93
	v_pk_fma_f32 v[52:53], v[68:69], 0.5, v[52:53] op_sel_hi:[1,0,1] neg_lo:[1,0,0] neg_hi:[1,0,0]
	v_pk_fma_f32 v[0:1], v[72:73], s[0:1], v[0:1] op_sel_hi:[1,0,1]
	v_pk_fma_f32 v[68:69], v[86:87], s[6:7], v[52:53] op_sel:[1,0,0] op_sel_hi:[0,0,1] neg_lo:[1,0,0] neg_hi:[1,0,0]
	v_pk_fma_f32 v[52:53], v[86:87], s[6:7], v[52:53] op_sel:[1,0,0] op_sel_hi:[0,0,1]
	global_store_dwordx2 v[88:89], v[96:97], off
	global_store_dwordx2 v[82:83], v[0:1], off
	v_pk_add_f32 v[0:1], v[74:75], v[80:81] neg_lo:[0,1] neg_hi:[0,1]
	v_pk_fma_f32 v[52:53], v[90:91], s[8:9], v[52:53] op_sel:[1,0,0] op_sel_hi:[0,0,1] neg_lo:[1,0,0] neg_hi:[1,0,0]
	v_pk_fma_f32 v[68:69], v[90:91], s[8:9], v[68:69] op_sel:[1,0,0] op_sel_hi:[0,0,1]
	v_pk_add_f32 v[0:1], v[0:1], v[70:71]
	v_mov_b32_e32 v70, v68
	v_mov_b32_e32 v71, v53
	;; [unrolled: 1-line block ×4, first 2 shown]
	v_pk_fma_f32 v[70:71], v[0:1], s[0:1], v[70:71] op_sel_hi:[1,0,1]
	v_pk_fma_f32 v[0:1], v[0:1], s[0:1], v[52:53] op_sel_hi:[1,0,1]
	v_pk_fma_f32 v[94:95], v[72:73], s[0:1], v[94:95] op_sel_hi:[1,0,1]
	global_store_dwordx2 v[84:85], v[0:1], off
	global_store_dwordx2 v[76:77], v[70:71], off
	global_store_dwordx2 v[78:79], v[94:95], off
	v_add_u32_e32 v0, 17, v134
	v_mul_hi_u32 v1, v0, s2
	v_lshrrev_b32_e32 v1, 6, v1
	v_mul_lo_u32 v7, v1, s1
	v_sub_u32_e32 v0, v0, v7
	v_mad_u64_u32 v[0:1], s[4:5], v1, s3, v[0:1]
	v_mad_u64_u32 v[52:53], s[4:5], s10, v0, 0
	v_mov_b32_e32 v46, v53
	v_mad_u64_u32 v[68:69], s[4:5], s11, v0, v[46:47]
	v_add_u32_e32 v1, 0x55, v0
	v_mov_b32_e32 v53, v68
	v_mad_u64_u32 v[68:69], s[4:5], s10, v1, 0
	v_mov_b32_e32 v46, v69
	v_mad_u64_u32 v[70:71], s[4:5], s11, v1, v[46:47]
	v_add_u32_e32 v1, 0xaa, v0
	v_mov_b32_e32 v69, v70
	;; [unrolled: 5-line block ×3, first 2 shown]
	v_mad_u64_u32 v[72:73], s[4:5], s10, v1, 0
	v_mov_b32_e32 v46, v73
	v_add_u32_e32 v7, 0x154, v0
	v_mad_u64_u32 v[74:75], s[4:5], s11, v1, v[46:47]
	v_mad_u64_u32 v[0:1], s[4:5], s10, v7, 0
	v_mov_b32_e32 v46, v1
	v_mov_b32_e32 v73, v74
	v_mad_u64_u32 v[74:75], s[4:5], s11, v7, v[46:47]
	v_mov_b32_e32 v1, v74
	v_mov_b32_e32 v78, v30
	;; [unrolled: 1-line block ×3, first 2 shown]
	v_lshl_add_u64 v[52:53], v[52:53], 3, v[2:3]
	v_lshl_add_u64 v[68:69], v[68:69], 3, v[2:3]
	;; [unrolled: 1-line block ×5, first 2 shown]
	v_mov_b32_e32 v40, v31
	s_waitcnt vmcnt(5)
	v_pk_mul_f32 v[74:75], v[50:51], v[66:67] op_sel_hi:[0,1]
	v_pk_fma_f32 v[76:77], v[38:39], v[66:67], v[74:75] op_sel:[0,0,1] op_sel_hi:[1,1,0]
	v_pk_fma_f32 v[66:67], v[38:39], v[66:67], v[74:75] op_sel:[0,0,1] op_sel_hi:[0,1,0] neg_lo:[1,0,0] neg_hi:[1,0,0]
	v_mov_b32_e32 v38, v57
	v_pk_mul_f32 v[56:57], v[38:39], v[64:65] op_sel_hi:[0,1]
	v_mov_b32_e32 v38, v49
	v_mov_b32_e32 v77, v67
	v_pk_fma_f32 v[66:67], v[38:39], v[64:65], v[56:57] op_sel:[0,0,1] op_sel_hi:[1,1,0]
	v_pk_fma_f32 v[48:49], v[38:39], v[64:65], v[56:57] op_sel:[0,0,1] op_sel_hi:[0,1,0] neg_lo:[1,0,0] neg_hi:[1,0,0]
	v_mov_b32_e32 v38, v59
	v_mov_b32_e32 v67, v49
	v_pk_mul_f32 v[48:49], v[38:39], v[60:61] op_sel_hi:[0,1]
	v_mov_b32_e32 v38, v47
	v_pk_fma_f32 v[64:65], v[38:39], v[60:61], v[48:49] op_sel:[0,0,1] op_sel_hi:[1,1,0]
	v_pk_fma_f32 v[46:47], v[38:39], v[60:61], v[48:49] op_sel:[0,0,1] op_sel_hi:[0,1,0] neg_lo:[1,0,0] neg_hi:[1,0,0]
	v_mov_b32_e32 v65, v47
	v_pk_mul_f32 v[46:47], v[44:45], v[62:63] op_sel_hi:[0,1]
	v_pk_fma_f32 v[60:61], v[36:37], v[62:63], v[46:47] op_sel:[0,0,1] op_sel_hi:[1,1,0]
	v_pk_fma_f32 v[46:47], v[36:37], v[62:63], v[46:47] op_sel:[0,0,1] op_sel_hi:[0,1,0] neg_lo:[1,0,0] neg_hi:[1,0,0]
	v_mov_b32_e32 v61, v47
	v_pk_add_f32 v[46:47], v[76:77], v[64:65]
	v_pk_add_f32 v[48:49], v[60:61], v[64:65] neg_lo:[0,1] neg_hi:[0,1]
	v_pk_fma_f32 v[80:81], v[46:47], 0.5, v[78:79] op_sel_hi:[1,0,1] neg_lo:[1,0,0] neg_hi:[1,0,0]
	v_pk_add_f32 v[46:47], v[66:67], v[76:77] neg_lo:[0,1] neg_hi:[0,1]
	v_pk_add_f32 v[74:75], v[66:67], v[60:61] neg_lo:[0,1] neg_hi:[0,1]
	v_pk_add_f32 v[82:83], v[46:47], v[48:49]
	global_load_dwordx4 v[46:49], v[54:55], off offset:560
	global_load_dwordx4 v[56:59], v[54:55], off offset:544
	v_pk_add_f32 v[86:87], v[78:79], v[66:67]
	v_pk_add_f32 v[62:63], v[76:77], v[64:65] neg_lo:[0,1] neg_hi:[0,1]
	v_pk_fma_f32 v[54:55], v[74:75], s[6:7], v[80:81] op_sel:[1,0,0] op_sel_hi:[0,0,1]
	v_pk_fma_f32 v[80:81], v[74:75], s[6:7], v[80:81] op_sel:[1,0,0] op_sel_hi:[0,0,1] neg_lo:[1,0,0] neg_hi:[1,0,0]
	v_pk_add_f32 v[86:87], v[76:77], v[86:87]
	v_pk_fma_f32 v[80:81], v[62:63], s[8:9], v[80:81] op_sel:[1,0,0] op_sel_hi:[0,0,1] neg_lo:[1,0,0] neg_hi:[1,0,0]
	v_pk_fma_f32 v[54:55], v[62:63], s[8:9], v[54:55] op_sel:[1,0,0] op_sel_hi:[0,0,1]
	v_pk_add_f32 v[86:87], v[86:87], v[64:65]
	v_mov_b32_e32 v85, v81
	v_pk_add_f32 v[86:87], v[86:87], v[60:61]
	v_mov_b32_e32 v81, v55
	global_store_dwordx2 v[52:53], v[86:87], off
	v_pk_fma_f32 v[52:53], v[82:83], s[0:1], v[80:81] op_sel_hi:[1,0,1]
	v_mov_b32_e32 v84, v54
	global_store_dwordx2 v[68:69], v[52:53], off
	v_pk_add_f32 v[52:53], v[76:77], v[66:67] neg_lo:[0,1] neg_hi:[0,1]
	v_pk_add_f32 v[54:55], v[64:65], v[60:61] neg_lo:[0,1] neg_hi:[0,1]
	v_pk_fma_f32 v[84:85], v[82:83], s[0:1], v[84:85] op_sel_hi:[1,0,1]
	v_pk_add_f32 v[52:53], v[52:53], v[54:55]
	v_pk_add_f32 v[54:55], v[66:67], v[60:61]
	s_nop 0
	v_pk_fma_f32 v[54:55], v[54:55], 0.5, v[78:79] op_sel_hi:[1,0,1] neg_lo:[1,0,0] neg_hi:[1,0,0]
	s_nop 0
	v_pk_fma_f32 v[60:61], v[62:63], s[6:7], v[54:55] op_sel:[1,0,0] op_sel_hi:[0,0,1] neg_lo:[1,0,0] neg_hi:[1,0,0]
	v_pk_fma_f32 v[54:55], v[62:63], s[6:7], v[54:55] op_sel:[1,0,0] op_sel_hi:[0,0,1]
	v_pk_fma_f32 v[54:55], v[74:75], s[8:9], v[54:55] op_sel:[1,0,0] op_sel_hi:[0,0,1] neg_lo:[1,0,0] neg_hi:[1,0,0]
	v_pk_fma_f32 v[60:61], v[74:75], s[8:9], v[60:61] op_sel:[1,0,0] op_sel_hi:[0,0,1]
	v_mov_b32_e32 v62, v60
	v_mov_b32_e32 v63, v55
	;; [unrolled: 1-line block ×3, first 2 shown]
	v_pk_fma_f32 v[62:63], v[52:53], s[0:1], v[62:63] op_sel_hi:[1,0,1]
	v_pk_fma_f32 v[52:53], v[52:53], s[0:1], v[54:55] op_sel_hi:[1,0,1]
	global_store_dwordx2 v[70:71], v[52:53], off
	global_store_dwordx2 v[72:73], v[62:63], off
	;; [unrolled: 1-line block ×3, first 2 shown]
	v_add_u32_e32 v0, 34, v134
	v_mul_hi_u32 v1, v0, s2
	v_lshrrev_b32_e32 v1, 6, v1
	v_mul_lo_u32 v7, v1, s1
	v_sub_u32_e32 v0, v0, v7
	v_mad_u64_u32 v[0:1], s[4:5], v1, s3, v[0:1]
	v_mad_u64_u32 v[52:53], s[4:5], s10, v0, 0
	v_mov_b32_e32 v30, v53
	v_mad_u64_u32 v[54:55], s[4:5], s11, v0, v[30:31]
	v_add_u32_e32 v1, 0x55, v0
	v_mov_b32_e32 v53, v54
	v_mad_u64_u32 v[54:55], s[4:5], s10, v1, 0
	v_mov_b32_e32 v30, v55
	v_mad_u64_u32 v[60:61], s[4:5], s11, v1, v[30:31]
	v_add_u32_e32 v1, 0xaa, v0
	v_mov_b32_e32 v55, v60
	;; [unrolled: 5-line block ×3, first 2 shown]
	v_mad_u64_u32 v[62:63], s[4:5], s10, v1, 0
	v_mov_b32_e32 v30, v63
	v_add_u32_e32 v7, 0x154, v0
	v_mad_u64_u32 v[64:65], s[4:5], s11, v1, v[30:31]
	v_mad_u64_u32 v[0:1], s[4:5], s10, v7, 0
	v_mov_b32_e32 v30, v1
	v_mov_b32_e32 v63, v64
	v_mad_u64_u32 v[64:65], s[4:5], s11, v7, v[30:31]
	v_mov_b32_e32 v30, v51
	v_mov_b32_e32 v1, v64
	v_lshl_add_u64 v[52:53], v[52:53], 3, v[2:3]
	v_lshl_add_u64 v[54:55], v[54:55], 3, v[2:3]
	;; [unrolled: 1-line block ×4, first 2 shown]
	s_waitcnt vmcnt(5)
	v_pk_mul_f32 v[50:51], v[30:31], v[58:59] op_sel_hi:[0,1]
	v_mov_b32_e32 v30, v39
	v_pk_fma_f32 v[64:65], v[30:31], v[58:59], v[50:51] op_sel:[0,0,1] op_sel_hi:[1,1,0]
	v_pk_fma_f32 v[38:39], v[30:31], v[58:59], v[50:51] op_sel:[0,0,1] op_sel_hi:[0,1,0] neg_lo:[1,0,0] neg_hi:[1,0,0]
	v_mov_b32_e32 v65, v39
	v_pk_mul_f32 v[38:39], v[34:35], v[56:57] op_sel_hi:[0,1]
	v_pk_fma_f32 v[50:51], v[26:27], v[56:57], v[38:39] op_sel:[0,0,1] op_sel_hi:[1,1,0]
	v_pk_fma_f32 v[38:39], v[26:27], v[56:57], v[38:39] op_sel:[0,0,1] op_sel_hi:[0,1,0] neg_lo:[1,0,0] neg_hi:[1,0,0]
	v_mov_b32_e32 v51, v39
	v_pk_mul_f32 v[38:39], v[32:33], v[46:47] op_sel_hi:[0,1]
	v_pk_fma_f32 v[56:57], v[24:25], v[46:47], v[38:39] op_sel:[0,0,1] op_sel_hi:[1,1,0]
	v_pk_fma_f32 v[38:39], v[24:25], v[46:47], v[38:39] op_sel:[0,0,1] op_sel_hi:[0,1,0] neg_lo:[1,0,0] neg_hi:[1,0,0]
	v_mov_b32_e32 v24, v45
	v_mov_b32_e32 v57, v39
	v_pk_mul_f32 v[38:39], v[24:25], v[48:49] op_sel_hi:[0,1]
	v_mov_b32_e32 v24, v37
	v_pk_fma_f32 v[58:59], v[24:25], v[48:49], v[38:39] op_sel:[0,0,1] op_sel_hi:[1,1,0]
	v_pk_fma_f32 v[36:37], v[24:25], v[48:49], v[38:39] op_sel:[0,0,1] op_sel_hi:[0,1,0] neg_lo:[1,0,0] neg_hi:[1,0,0]
	v_mov_b32_e32 v59, v37
	v_pk_add_f32 v[36:37], v[64:65], v[56:57]
	v_pk_add_f32 v[38:39], v[58:59], v[56:57] neg_lo:[0,1] neg_hi:[0,1]
	v_pk_fma_f32 v[30:31], v[36:37], 0.5, v[40:41] op_sel_hi:[1,0,1] neg_lo:[1,0,0] neg_hi:[1,0,0]
	v_pk_add_f32 v[36:37], v[50:51], v[64:65] neg_lo:[0,1] neg_hi:[0,1]
	v_pk_add_f32 v[66:67], v[50:51], v[58:59] neg_lo:[0,1] neg_hi:[0,1]
	v_pk_add_f32 v[68:69], v[36:37], v[38:39]
	global_load_dwordx4 v[36:39], v[42:43], off offset:560
	global_load_dwordx4 v[44:47], v[42:43], off offset:544
	v_pk_add_f32 v[48:49], v[64:65], v[56:57] neg_lo:[0,1] neg_hi:[0,1]
	v_pk_fma_f32 v[42:43], v[66:67], s[6:7], v[30:31] op_sel:[1,0,0] op_sel_hi:[0,0,1]
	v_pk_fma_f32 v[30:31], v[66:67], s[6:7], v[30:31] op_sel:[1,0,0] op_sel_hi:[0,0,1] neg_lo:[1,0,0] neg_hi:[1,0,0]
	v_pk_add_f32 v[72:73], v[40:41], v[50:51]
	v_pk_fma_f32 v[30:31], v[48:49], s[8:9], v[30:31] op_sel:[1,0,0] op_sel_hi:[0,0,1] neg_lo:[1,0,0] neg_hi:[1,0,0]
	v_pk_fma_f32 v[42:43], v[48:49], s[8:9], v[42:43] op_sel:[1,0,0] op_sel_hi:[0,0,1]
	v_pk_add_f32 v[72:73], v[64:65], v[72:73]
	v_mov_b32_e32 v71, v31
	v_pk_add_f32 v[72:73], v[72:73], v[56:57]
	v_mov_b32_e32 v31, v43
	v_pk_add_f32 v[72:73], v[72:73], v[58:59]
	v_pk_fma_f32 v[30:31], v[68:69], s[0:1], v[30:31] op_sel_hi:[1,0,1]
	global_store_dwordx2 v[52:53], v[72:73], off
	global_store_dwordx2 v[54:55], v[30:31], off
	v_pk_add_f32 v[30:31], v[50:51], v[58:59]
	v_mov_b32_e32 v70, v42
	v_pk_fma_f32 v[30:31], v[30:31], 0.5, v[40:41] op_sel_hi:[1,0,1] neg_lo:[1,0,0] neg_hi:[1,0,0]
	v_pk_add_f32 v[40:41], v[64:65], v[50:51] neg_lo:[0,1] neg_hi:[0,1]
	v_pk_add_f32 v[42:43], v[56:57], v[58:59] neg_lo:[0,1] neg_hi:[0,1]
	v_lshl_add_u64 v[62:63], v[62:63], 3, v[2:3]
	v_pk_add_f32 v[40:41], v[40:41], v[42:43]
	v_pk_fma_f32 v[42:43], v[48:49], s[6:7], v[30:31] op_sel:[1,0,0] op_sel_hi:[0,0,1] neg_lo:[1,0,0] neg_hi:[1,0,0]
	v_pk_fma_f32 v[30:31], v[48:49], s[6:7], v[30:31] op_sel:[1,0,0] op_sel_hi:[0,0,1]
	v_pk_fma_f32 v[30:31], v[66:67], s[8:9], v[30:31] op_sel:[1,0,0] op_sel_hi:[0,0,1] neg_lo:[1,0,0] neg_hi:[1,0,0]
	v_pk_fma_f32 v[42:43], v[66:67], s[8:9], v[42:43] op_sel:[1,0,0] op_sel_hi:[0,0,1]
	v_mov_b32_e32 v49, v31
	v_mov_b32_e32 v31, v43
	;; [unrolled: 1-line block ×3, first 2 shown]
	v_pk_fma_f32 v[30:31], v[40:41], s[0:1], v[30:31] op_sel_hi:[1,0,1]
	v_pk_fma_f32 v[70:71], v[68:69], s[0:1], v[70:71] op_sel_hi:[1,0,1]
	;; [unrolled: 1-line block ×3, first 2 shown]
	global_store_dwordx2 v[60:61], v[30:31], off
	global_store_dwordx2 v[62:63], v[48:49], off
	;; [unrolled: 1-line block ×3, first 2 shown]
	v_add_u32_e32 v0, 51, v134
	v_mul_hi_u32 v1, v0, s2
	v_lshrrev_b32_e32 v1, 6, v1
	v_mul_lo_u32 v7, v1, s1
	v_sub_u32_e32 v0, v0, v7
	v_mad_u64_u32 v[0:1], s[4:5], v1, s3, v[0:1]
	v_mad_u64_u32 v[30:31], s[4:5], s10, v0, 0
	v_mov_b32_e32 v24, v31
	v_mad_u64_u32 v[40:41], s[4:5], s11, v0, v[24:25]
	v_mov_b32_e32 v31, v40
	v_add_u32_e32 v1, 0x55, v0
	v_lshl_add_u64 v[40:41], v[30:31], 3, v[2:3]
	v_mad_u64_u32 v[30:31], s[4:5], s10, v1, 0
	v_mov_b32_e32 v24, v31
	v_mad_u64_u32 v[42:43], s[4:5], s11, v1, v[24:25]
	v_mov_b32_e32 v31, v42
	v_add_u32_e32 v1, 0xaa, v0
	v_lshl_add_u64 v[42:43], v[30:31], 3, v[2:3]
	;; [unrolled: 6-line block ×3, first 2 shown]
	v_mad_u64_u32 v[30:31], s[4:5], s10, v1, 0
	v_mov_b32_e32 v24, v31
	v_add_u32_e32 v7, 0x154, v0
	v_mad_u64_u32 v[50:51], s[4:5], s11, v1, v[24:25]
	v_mad_u64_u32 v[0:1], s[4:5], s10, v7, 0
	v_mov_b32_e32 v31, v50
	v_mov_b32_e32 v24, v1
	v_lshl_add_u64 v[50:51], v[30:31], 3, v[2:3]
	v_mad_u64_u32 v[30:31], s[4:5], s11, v7, v[24:25]
	v_mov_b32_e32 v24, v35
	v_mov_b32_e32 v1, v30
	v_mov_b32_e32 v52, v8
	s_waitcnt vmcnt(5)
	v_pk_mul_f32 v[30:31], v[24:25], v[44:45] op_sel_hi:[0,1]
	v_mov_b32_e32 v24, v27
	v_pk_fma_f32 v[34:35], v[24:25], v[44:45], v[30:31] op_sel:[0,0,1] op_sel_hi:[1,1,0]
	v_pk_fma_f32 v[26:27], v[24:25], v[44:45], v[30:31] op_sel:[0,0,1] op_sel_hi:[0,1,0] neg_lo:[1,0,0] neg_hi:[1,0,0]
	v_mov_b32_e32 v35, v27
	v_pk_mul_f32 v[26:27], v[22:23], v[38:39] op_sel_hi:[0,1]
	v_pk_fma_f32 v[44:45], v[14:15], v[38:39], v[26:27] op_sel:[0,0,1] op_sel_hi:[1,1,0]
	v_pk_fma_f32 v[26:27], v[14:15], v[38:39], v[26:27] op_sel:[0,0,1] op_sel_hi:[0,1,0] neg_lo:[1,0,0] neg_hi:[1,0,0]
	v_mov_b32_e32 v45, v27
	v_pk_mul_f32 v[26:27], v[16:17], v[46:47] op_sel_hi:[0,1]
	v_pk_fma_f32 v[38:39], v[12:13], v[46:47], v[26:27] op_sel:[0,0,1] op_sel_hi:[1,1,0]
	v_pk_fma_f32 v[26:27], v[12:13], v[46:47], v[26:27] op_sel:[0,0,1] op_sel_hi:[0,1,0] neg_lo:[1,0,0] neg_hi:[1,0,0]
	v_mov_b32_e32 v12, v33
	v_mov_b32_e32 v39, v27
	v_pk_mul_f32 v[26:27], v[12:13], v[36:37] op_sel_hi:[0,1]
	v_mov_b32_e32 v12, v25
	v_pk_fma_f32 v[46:47], v[12:13], v[36:37], v[26:27] op_sel:[0,0,1] op_sel_hi:[1,1,0]
	v_pk_fma_f32 v[24:25], v[12:13], v[36:37], v[26:27] op_sel:[0,0,1] op_sel_hi:[0,1,0] neg_lo:[1,0,0] neg_hi:[1,0,0]
	v_mov_b32_e32 v47, v25
	v_pk_add_f32 v[24:25], v[34:35], v[38:39] neg_lo:[0,1] neg_hi:[0,1]
	v_pk_add_f32 v[26:27], v[44:45], v[46:47] neg_lo:[0,1] neg_hi:[0,1]
	v_mov_b32_e32 v53, v4
	v_pk_add_f32 v[36:37], v[24:25], v[26:27]
	v_pk_add_f32 v[24:25], v[38:39], v[46:47]
	v_pk_add_f32 v[56:57], v[34:35], v[44:45] neg_lo:[0,1] neg_hi:[0,1]
	v_pk_fma_f32 v[54:55], v[24:25], 0.5, v[52:53] op_sel_hi:[1,0,1] neg_lo:[1,0,0] neg_hi:[1,0,0]
	global_load_dwordx4 v[24:27], v[28:29], off offset:560
	global_load_dwordx4 v[30:33], v[28:29], off offset:544
	v_pk_fma_f32 v[28:29], v[56:57], s[6:7], v[54:55] op_sel:[1,0,0] op_sel_hi:[0,0,1]
	v_pk_fma_f32 v[54:55], v[56:57], s[6:7], v[54:55] op_sel:[1,0,0] op_sel_hi:[0,0,1] neg_lo:[1,0,0] neg_hi:[1,0,0]
	v_pk_add_f32 v[58:59], v[38:39], v[46:47] neg_lo:[0,1] neg_hi:[0,1]
	v_pk_add_f32 v[62:63], v[52:53], v[34:35]
	v_pk_fma_f32 v[54:55], v[58:59], s[8:9], v[54:55] op_sel:[1,0,0] op_sel_hi:[0,0,1] neg_lo:[1,0,0] neg_hi:[1,0,0]
	v_pk_fma_f32 v[28:29], v[58:59], s[8:9], v[28:29] op_sel:[1,0,0] op_sel_hi:[0,0,1]
	v_pk_add_f32 v[62:63], v[62:63], v[38:39]
	v_mov_b32_e32 v61, v55
	v_pk_add_f32 v[62:63], v[62:63], v[46:47]
	v_mov_b32_e32 v55, v29
	v_mov_b32_e32 v60, v28
	v_pk_add_f32 v[62:63], v[44:45], v[62:63]
	v_pk_fma_f32 v[28:29], v[36:37], s[0:1], v[54:55] op_sel_hi:[1,0,1]
	global_store_dwordx2 v[40:41], v[62:63], off
	global_store_dwordx2 v[42:43], v[28:29], off
	v_pk_add_f32 v[28:29], v[38:39], v[34:35] neg_lo:[0,1] neg_hi:[0,1]
	v_pk_add_f32 v[34:35], v[34:35], v[44:45]
	v_pk_fma_f32 v[60:61], v[36:37], s[0:1], v[60:61] op_sel_hi:[1,0,1]
	v_pk_add_f32 v[36:37], v[46:47], v[44:45] neg_lo:[0,1] neg_hi:[0,1]
	v_pk_fma_f32 v[34:35], v[34:35], 0.5, v[52:53] op_sel_hi:[1,0,1] neg_lo:[1,0,0] neg_hi:[1,0,0]
	v_pk_add_f32 v[28:29], v[28:29], v[36:37]
	v_pk_fma_f32 v[36:37], v[58:59], s[6:7], v[34:35] op_sel:[1,0,0] op_sel_hi:[0,0,1] neg_lo:[1,0,0] neg_hi:[1,0,0]
	v_pk_fma_f32 v[34:35], v[58:59], s[6:7], v[34:35] op_sel:[1,0,0] op_sel_hi:[0,0,1]
	v_pk_fma_f32 v[34:35], v[56:57], s[8:9], v[34:35] op_sel:[1,0,0] op_sel_hi:[0,0,1] neg_lo:[1,0,0] neg_hi:[1,0,0]
	v_pk_fma_f32 v[36:37], v[56:57], s[8:9], v[36:37] op_sel:[1,0,0] op_sel_hi:[0,0,1]
	v_mov_b32_e32 v38, v36
	v_mov_b32_e32 v39, v35
	;; [unrolled: 1-line block ×3, first 2 shown]
	v_lshl_add_u64 v[0:1], v[0:1], 3, v[2:3]
	v_pk_fma_f32 v[38:39], v[28:29], s[0:1], v[38:39] op_sel_hi:[1,0,1]
	v_pk_fma_f32 v[28:29], v[28:29], s[0:1], v[34:35] op_sel_hi:[1,0,1]
	global_store_dwordx2 v[48:49], v[28:29], off
	global_store_dwordx2 v[50:51], v[38:39], off
	;; [unrolled: 1-line block ×3, first 2 shown]
	v_add_u32_e32 v0, 0x44, v134
	v_mul_hi_u32 v1, v0, s2
	v_lshrrev_b32_e32 v1, 6, v1
	v_mul_lo_u32 v4, v1, s1
	v_sub_u32_e32 v0, v0, v4
	v_mad_u64_u32 v[0:1], s[2:3], v1, s3, v[0:1]
	v_mad_u64_u32 v[28:29], s[2:3], s10, v0, 0
	v_mov_b32_e32 v4, v29
	v_mad_u64_u32 v[34:35], s[2:3], s11, v0, v[4:5]
	v_add_u32_e32 v1, 0x55, v0
	v_mov_b32_e32 v29, v34
	v_mad_u64_u32 v[34:35], s[2:3], s10, v1, 0
	v_mov_b32_e32 v4, v35
	v_mad_u64_u32 v[36:37], s[2:3], s11, v1, v[4:5]
	v_add_u32_e32 v1, 0xaa, v0
	v_mov_b32_e32 v35, v36
	;; [unrolled: 5-line block ×3, first 2 shown]
	v_mad_u64_u32 v[38:39], s[2:3], s10, v1, 0
	v_mov_b32_e32 v4, v39
	v_add_u32_e32 v7, 0x154, v0
	v_mad_u64_u32 v[40:41], s[2:3], s11, v1, v[4:5]
	v_mad_u64_u32 v[0:1], s[2:3], s10, v7, 0
	v_mov_b32_e32 v4, v1
	v_mov_b32_e32 v39, v40
	v_mad_u64_u32 v[40:41], s[2:3], s11, v7, v[4:5]
	v_mov_b32_e32 v1, v40
	v_lshl_add_u64 v[28:29], v[28:29], 3, v[2:3]
	v_lshl_add_u64 v[34:35], v[34:35], 3, v[2:3]
	;; [unrolled: 1-line block ×5, first 2 shown]
	v_mov_b32_e32 v4, v15
	s_waitcnt vmcnt(5)
	v_pk_mul_f32 v[2:3], v[20:21], v[30:31] op_sel_hi:[0,1]
	v_pk_fma_f32 v[20:21], v[10:11], v[30:31], v[2:3] op_sel:[0,0,1] op_sel_hi:[1,1,0]
	v_pk_fma_f32 v[2:3], v[10:11], v[30:31], v[2:3] op_sel:[0,0,1] op_sel_hi:[0,1,0] neg_lo:[1,0,0] neg_hi:[1,0,0]
	v_mov_b32_e32 v2, v23
	v_mov_b32_e32 v21, v3
	v_pk_mul_f32 v[2:3], v[2:3], v[26:27] op_sel_hi:[0,1]
	v_pk_fma_f32 v[10:11], v[4:5], v[26:27], v[2:3] op_sel:[0,0,1] op_sel_hi:[1,1,0]
	v_pk_fma_f32 v[2:3], v[4:5], v[26:27], v[2:3] op_sel:[0,0,1] op_sel_hi:[0,1,0] neg_lo:[1,0,0] neg_hi:[1,0,0]
	v_mov_b32_e32 v2, v17
	v_mov_b32_e32 v11, v3
	v_pk_mul_f32 v[2:3], v[2:3], v[32:33] op_sel_hi:[0,1]
	v_mov_b32_e32 v4, v13
	v_pk_fma_f32 v[14:15], v[4:5], v[32:33], v[2:3] op_sel:[0,0,1] op_sel_hi:[1,1,0]
	v_pk_fma_f32 v[2:3], v[4:5], v[32:33], v[2:3] op_sel:[0,0,1] op_sel_hi:[0,1,0] neg_lo:[1,0,0] neg_hi:[1,0,0]
	v_mov_b32_e32 v15, v3
	v_pk_mul_f32 v[2:3], v[18:19], v[24:25] op_sel_hi:[0,1]
	v_pk_fma_f32 v[12:13], v[6:7], v[24:25], v[2:3] op_sel:[0,0,1] op_sel_hi:[1,1,0]
	v_pk_fma_f32 v[2:3], v[6:7], v[24:25], v[2:3] op_sel:[0,0,1] op_sel_hi:[0,1,0] neg_lo:[1,0,0] neg_hi:[1,0,0]
	v_mov_b32_e32 v13, v3
	v_pk_add_f32 v[2:3], v[20:21], v[14:15] neg_lo:[0,1] neg_hi:[0,1]
	v_pk_add_f32 v[6:7], v[10:11], v[12:13] neg_lo:[0,1] neg_hi:[0,1]
	v_mov_b32_e32 v4, v9
	v_pk_add_f32 v[2:3], v[2:3], v[6:7]
	v_pk_add_f32 v[6:7], v[14:15], v[12:13]
	v_pk_add_f32 v[8:9], v[20:21], v[10:11] neg_lo:[0,1] neg_hi:[0,1]
	v_pk_fma_f32 v[6:7], v[6:7], 0.5, v[4:5] op_sel_hi:[1,0,1] neg_lo:[1,0,0] neg_hi:[1,0,0]
	v_pk_add_f32 v[18:19], v[14:15], v[12:13] neg_lo:[0,1] neg_hi:[0,1]
	v_pk_fma_f32 v[16:17], v[8:9], s[6:7], v[6:7] op_sel:[1,0,0] op_sel_hi:[0,0,1]
	v_pk_fma_f32 v[6:7], v[8:9], s[6:7], v[6:7] op_sel:[1,0,0] op_sel_hi:[0,0,1] neg_lo:[1,0,0] neg_hi:[1,0,0]
	v_pk_add_f32 v[24:25], v[4:5], v[20:21]
	v_pk_fma_f32 v[6:7], v[18:19], s[8:9], v[6:7] op_sel:[1,0,0] op_sel_hi:[0,0,1] neg_lo:[1,0,0] neg_hi:[1,0,0]
	v_pk_fma_f32 v[16:17], v[18:19], s[8:9], v[16:17] op_sel:[1,0,0] op_sel_hi:[0,0,1]
	v_pk_add_f32 v[24:25], v[24:25], v[14:15]
	v_mov_b32_e32 v22, v16
	v_mov_b32_e32 v23, v7
	v_pk_add_f32 v[24:25], v[24:25], v[12:13]
	v_mov_b32_e32 v7, v17
	v_pk_fma_f32 v[22:23], v[2:3], s[0:1], v[22:23] op_sel_hi:[1,0,1]
	v_pk_add_f32 v[24:25], v[10:11], v[24:25]
	v_pk_fma_f32 v[2:3], v[2:3], s[0:1], v[6:7] op_sel_hi:[1,0,1]
	global_store_dwordx2 v[28:29], v[24:25], off
	global_store_dwordx2 v[34:35], v[2:3], off
	v_pk_add_f32 v[2:3], v[14:15], v[20:21] neg_lo:[0,1] neg_hi:[0,1]
	v_pk_add_f32 v[6:7], v[12:13], v[10:11] neg_lo:[0,1] neg_hi:[0,1]
	s_nop 0
	v_pk_add_f32 v[2:3], v[2:3], v[6:7]
	v_pk_add_f32 v[6:7], v[20:21], v[10:11]
	s_nop 0
	v_pk_fma_f32 v[4:5], v[6:7], 0.5, v[4:5] op_sel_hi:[1,0,1] neg_lo:[1,0,0] neg_hi:[1,0,0]
	s_nop 0
	v_pk_fma_f32 v[6:7], v[18:19], s[6:7], v[4:5] op_sel:[1,0,0] op_sel_hi:[0,0,1] neg_lo:[1,0,0] neg_hi:[1,0,0]
	v_pk_fma_f32 v[4:5], v[18:19], s[6:7], v[4:5] op_sel:[1,0,0] op_sel_hi:[0,0,1]
	v_pk_fma_f32 v[4:5], v[8:9], s[8:9], v[4:5] op_sel:[1,0,0] op_sel_hi:[0,0,1] neg_lo:[1,0,0] neg_hi:[1,0,0]
	v_pk_fma_f32 v[6:7], v[8:9], s[8:9], v[6:7] op_sel:[1,0,0] op_sel_hi:[0,0,1]
	v_mov_b32_e32 v8, v6
	v_mov_b32_e32 v9, v5
	;; [unrolled: 1-line block ×3, first 2 shown]
	v_pk_fma_f32 v[8:9], v[2:3], s[0:1], v[8:9] op_sel_hi:[1,0,1]
	v_pk_fma_f32 v[2:3], v[2:3], s[0:1], v[4:5] op_sel_hi:[1,0,1]
	global_store_dwordx2 v[36:37], v[2:3], off
	global_store_dwordx2 v[38:39], v[8:9], off
	;; [unrolled: 1-line block ×3, first 2 shown]
.LBB0_20:
	s_endpgm
	.section	.rodata,"a",@progbits
	.p2align	6, 0x0
	.amdhsa_kernel fft_rtc_back_len425_factors_17_5_5_wgs_51_tpt_17_halfLds_sp_op_CI_CI_sbrr_dirReg
		.amdhsa_group_segment_fixed_size 0
		.amdhsa_private_segment_fixed_size 0
		.amdhsa_kernarg_size 104
		.amdhsa_user_sgpr_count 2
		.amdhsa_user_sgpr_dispatch_ptr 0
		.amdhsa_user_sgpr_queue_ptr 0
		.amdhsa_user_sgpr_kernarg_segment_ptr 1
		.amdhsa_user_sgpr_dispatch_id 0
		.amdhsa_user_sgpr_kernarg_preload_length 0
		.amdhsa_user_sgpr_kernarg_preload_offset 0
		.amdhsa_user_sgpr_private_segment_size 0
		.amdhsa_uses_dynamic_stack 0
		.amdhsa_enable_private_segment 0
		.amdhsa_system_sgpr_workgroup_id_x 1
		.amdhsa_system_sgpr_workgroup_id_y 0
		.amdhsa_system_sgpr_workgroup_id_z 0
		.amdhsa_system_sgpr_workgroup_info 0
		.amdhsa_system_vgpr_workitem_id 0
		.amdhsa_next_free_vgpr 207
		.amdhsa_next_free_sgpr 100
		.amdhsa_accum_offset 208
		.amdhsa_reserve_vcc 1
		.amdhsa_float_round_mode_32 0
		.amdhsa_float_round_mode_16_64 0
		.amdhsa_float_denorm_mode_32 3
		.amdhsa_float_denorm_mode_16_64 3
		.amdhsa_dx10_clamp 1
		.amdhsa_ieee_mode 1
		.amdhsa_fp16_overflow 0
		.amdhsa_tg_split 0
		.amdhsa_exception_fp_ieee_invalid_op 0
		.amdhsa_exception_fp_denorm_src 0
		.amdhsa_exception_fp_ieee_div_zero 0
		.amdhsa_exception_fp_ieee_overflow 0
		.amdhsa_exception_fp_ieee_underflow 0
		.amdhsa_exception_fp_ieee_inexact 0
		.amdhsa_exception_int_div_zero 0
	.end_amdhsa_kernel
	.text
.Lfunc_end0:
	.size	fft_rtc_back_len425_factors_17_5_5_wgs_51_tpt_17_halfLds_sp_op_CI_CI_sbrr_dirReg, .Lfunc_end0-fft_rtc_back_len425_factors_17_5_5_wgs_51_tpt_17_halfLds_sp_op_CI_CI_sbrr_dirReg
                                        ; -- End function
	.section	.AMDGPU.csdata,"",@progbits
; Kernel info:
; codeLenInByte = 19272
; NumSgprs: 106
; NumVgprs: 207
; NumAgprs: 0
; TotalNumVgprs: 207
; ScratchSize: 0
; MemoryBound: 0
; FloatMode: 240
; IeeeMode: 1
; LDSByteSize: 0 bytes/workgroup (compile time only)
; SGPRBlocks: 13
; VGPRBlocks: 25
; NumSGPRsForWavesPerEU: 106
; NumVGPRsForWavesPerEU: 207
; AccumOffset: 208
; Occupancy: 2
; WaveLimiterHint : 1
; COMPUTE_PGM_RSRC2:SCRATCH_EN: 0
; COMPUTE_PGM_RSRC2:USER_SGPR: 2
; COMPUTE_PGM_RSRC2:TRAP_HANDLER: 0
; COMPUTE_PGM_RSRC2:TGID_X_EN: 1
; COMPUTE_PGM_RSRC2:TGID_Y_EN: 0
; COMPUTE_PGM_RSRC2:TGID_Z_EN: 0
; COMPUTE_PGM_RSRC2:TIDIG_COMP_CNT: 0
; COMPUTE_PGM_RSRC3_GFX90A:ACCUM_OFFSET: 51
; COMPUTE_PGM_RSRC3_GFX90A:TG_SPLIT: 0
	.text
	.p2alignl 6, 3212836864
	.fill 256, 4, 3212836864
	.type	__hip_cuid_1527637877ab7718,@object ; @__hip_cuid_1527637877ab7718
	.section	.bss,"aw",@nobits
	.globl	__hip_cuid_1527637877ab7718
__hip_cuid_1527637877ab7718:
	.byte	0                               ; 0x0
	.size	__hip_cuid_1527637877ab7718, 1

	.ident	"AMD clang version 19.0.0git (https://github.com/RadeonOpenCompute/llvm-project roc-6.4.0 25133 c7fe45cf4b819c5991fe208aaa96edf142730f1d)"
	.section	".note.GNU-stack","",@progbits
	.addrsig
	.addrsig_sym __hip_cuid_1527637877ab7718
	.amdgpu_metadata
---
amdhsa.kernels:
  - .agpr_count:     0
    .args:
      - .actual_access:  read_only
        .address_space:  global
        .offset:         0
        .size:           8
        .value_kind:     global_buffer
      - .offset:         8
        .size:           8
        .value_kind:     by_value
      - .actual_access:  read_only
        .address_space:  global
        .offset:         16
        .size:           8
        .value_kind:     global_buffer
      - .actual_access:  read_only
        .address_space:  global
        .offset:         24
        .size:           8
        .value_kind:     global_buffer
      - .actual_access:  read_only
        .address_space:  global
        .offset:         32
        .size:           8
        .value_kind:     global_buffer
      - .offset:         40
        .size:           8
        .value_kind:     by_value
      - .actual_access:  read_only
        .address_space:  global
        .offset:         48
        .size:           8
        .value_kind:     global_buffer
      - .actual_access:  read_only
        .address_space:  global
        .offset:         56
        .size:           8
        .value_kind:     global_buffer
      - .offset:         64
        .size:           4
        .value_kind:     by_value
      - .actual_access:  read_only
        .address_space:  global
        .offset:         72
        .size:           8
        .value_kind:     global_buffer
      - .actual_access:  read_only
        .address_space:  global
        .offset:         80
        .size:           8
        .value_kind:     global_buffer
      - .actual_access:  read_only
        .address_space:  global
        .offset:         88
        .size:           8
        .value_kind:     global_buffer
      - .actual_access:  write_only
        .address_space:  global
        .offset:         96
        .size:           8
        .value_kind:     global_buffer
    .group_segment_fixed_size: 0
    .kernarg_segment_align: 8
    .kernarg_segment_size: 104
    .language:       OpenCL C
    .language_version:
      - 2
      - 0
    .max_flat_workgroup_size: 51
    .name:           fft_rtc_back_len425_factors_17_5_5_wgs_51_tpt_17_halfLds_sp_op_CI_CI_sbrr_dirReg
    .private_segment_fixed_size: 0
    .sgpr_count:     106
    .sgpr_spill_count: 28
    .symbol:         fft_rtc_back_len425_factors_17_5_5_wgs_51_tpt_17_halfLds_sp_op_CI_CI_sbrr_dirReg.kd
    .uniform_work_group_size: 1
    .uses_dynamic_stack: false
    .vgpr_count:     207
    .vgpr_spill_count: 0
    .wavefront_size: 64
amdhsa.target:   amdgcn-amd-amdhsa--gfx950
amdhsa.version:
  - 1
  - 2
...

	.end_amdgpu_metadata
